;; amdgpu-corpus repo=ROCm/aiter kind=harvested arch=n/a opt=n/a

/root/src/amdgpu-assembly/repos/ROCm__aiter/hsa/gfx942/fmoe_2stages/fmoe_stage1_bf16_pertokenInt8_g1u1_48x256_pf3.co:	file format elf64-amdgpu

Disassembly of section .text:

0000000000002a00 <_ZN5aiter45fmoe_stage1_bf16_pertokenInt8_g1u1_48x256_pf3E>:
	s_and_b32 s1, s1, 0xffff                                   // 000000002A00: 8601FF01 0000FFFF
	s_load_dwordx2 s[8:9], s[0:1], 0x0                         // 000000002A08: C0060200 00000000
	s_load_dwordx2 s[20:21], s[0:1], 0x10                      // 000000002A10: C0060500 00000010
	s_load_dwordx2 s[24:25], s[0:1], 0x20                      // 000000002A18: C0060600 00000020
	s_load_dwordx2 s[48:49], s[0:1], 0x30                      // 000000002A20: C0060C00 00000030
	s_load_dwordx2 s[28:29], s[0:1], 0x40                      // 000000002A28: C0060700 00000040
	s_load_dwordx2 s[32:33], s[0:1], 0x50                      // 000000002A30: C0060800 00000050
	s_load_dwordx2 s[36:37], s[0:1], 0x60                      // 000000002A38: C0060900 00000060
	s_load_dwordx2 s[12:13], s[0:1], 0x70                      // 000000002A40: C0060300 00000070
	s_load_dwordx2 s[44:45], s[0:1], 0x80                      // 000000002A48: C0060B00 00000080
	s_mov_b32 s89, 0                                           // 000000002A50: BED90080
	s_load_dword s64, s[0:1], 0x90                             // 000000002A54: C0021000 00000090
	s_load_dword s65, s[0:1], 0xa0                             // 000000002A5C: C0021040 000000A0
	s_load_dword s66, s[0:1], 0xb0                             // 000000002A64: C0021080 000000B0
	s_load_dword s67, s[0:1], 0xc0                             // 000000002A6C: C00210C0 000000C0
	s_load_dword s68, s[0:1], 0xd0                             // 000000002A74: C0021100 000000D0
	s_load_dword s69, s[0:1], 0xe0                             // 000000002A7C: C0021140 000000E0
	s_load_dword s71, s[0:1], 0xf0                             // 000000002A84: C00211C0 000000F0
	s_load_dword s72, s[0:1], 0x100                            // 000000002A8C: C0021200 00000100
	s_load_dword s74, s[0:1], 0x110                            // 000000002A94: C0021280 00000110
	s_load_dword s76, s[0:1], 0x120                            // 000000002A9C: C0021300 00000120
	s_load_dword s56, s[0:1], 0x130                            // 000000002AA4: C0020E00 00000130
	s_load_dword s88, s[0:1], 0x140                            // 000000002AAC: C0021600 00000140
	s_load_dword s89, s[0:1], 0x150                            // 000000002AB4: C0021640 00000150
	v_lshrrev_b32_e32 v1, 10, v0                               // 000000002ABC: 2002008A
	v_lshrrev_b32_e32 v2, 10, v1                               // 000000002AC0: 2004028A
	v_and_b32_e32 v2, 0x3ff, v2                                // 000000002AC4: 260404FF 000003FF
	v_and_b32_e32 v1, 0x3ff, v1                                // 000000002ACC: 260202FF 000003FF
	v_and_b32_e32 v0, 0x3ff, v0                                // 000000002AD4: 260000FF 000003FF
	v_lshrrev_b32_e32 v3, 6, v0                                // 000000002ADC: 20060086
	v_and_b32_e32 v0, 63, v0                                   // 000000002AE0: 260000BF
	s_mov_b32 s2, s2                                           // 000000002AE4: BE820002
	s_mov_b32 s3, s3                                           // 000000002AE8: BE830003
	s_mov_b32 s4, s4                                           // 000000002AEC: BE840004
	v_readfirstlane_b32 s7, v3                                 // 000000002AF0: 7E0E0503
	s_waitcnt lgkmcnt(0)                                       // 000000002AF4: BF8CC07F
	s_and_b32 s49, s49, 0xffff                                 // 000000002AF8: 8631FF31 0000FFFF
	s_load_dword s48, s[48:49], 0x0                            // 000000002B00: C0020C18 00000000
	s_and_b32 s45, s45, 0xffff                                 // 000000002B08: 862DFF2D 0000FFFF
	s_and_b32 s9, s9, 0xffff                                   // 000000002B10: 8609FF09 0000FFFF
	s_mul_i32 s60, s66, s68                                    // 000000002B18: 923C4442
	s_mul_i32 s61, s66, 4                                      // 000000002B1C: 923D8442
	s_mov_b32 s22, s60                                         // 000000002B20: BE96003C
	s_mov_b32 s26, -16                                         // 000000002B24: BE9A00D0
	s_mov_b32 s30, s61                                         // 000000002B28: BE9E003D
	s_mov_b32 s14, 0xc0                                        // 000000002B2C: BE8E00FF 000000C0
	s_mov_b32 s38, -16                                         // 000000002B34: BEA600D0
	s_mov_b32 s10, -16                                         // 000000002B38: BE8A00D0
	s_mov_b32 s34, 0x400                                       // 000000002B3C: BEA200FF 00000400
	s_mov_b32 s23, 0x20000                                     // 000000002B44: BE9700FF 00020000
	s_mov_b32 s27, 0x20000                                     // 000000002B4C: BE9B00FF 00020000
	s_mov_b32 s31, 0x20000                                     // 000000002B54: BE9F00FF 00020000
	s_mov_b32 s35, 0x20000                                     // 000000002B5C: BEA300FF 00020000
	s_mov_b32 s15, 0x20000                                     // 000000002B64: BE8F00FF 00020000
	s_mov_b32 s39, 0x20000                                     // 000000002B6C: BEA700FF 00020000
	s_mov_b32 s11, 0x20000                                     // 000000002B74: BE8B00FF 00020000
	s_and_b32 s21, s21, 0xffff                                 // 000000002B7C: 8615FF15 0000FFFF
	s_and_b32 s25, s25, 0xffff                                 // 000000002B84: 8619FF19 0000FFFF
	s_and_b32 s29, s29, 0xffff                                 // 000000002B8C: 861DFF1D 0000FFFF
	s_and_b32 s33, s33, 0xffff                                 // 000000002B94: 8621FF21 0000FFFF
	s_and_b32 s13, s13, 0xffff                                 // 000000002B9C: 860DFF0D 0000FFFF
	s_and_b32 s37, s37, 0xffff                                 // 000000002BA4: 8625FF25 0000FFFF
	s_or_b32 s21, s21, 0x40000                                 // 000000002BAC: 8715FF15 00040000
	s_or_b32 s25, s25, 0x40000                                 // 000000002BB4: 8719FF19 00040000
	s_or_b32 s29, s29, 0x40000                                 // 000000002BBC: 871DFF1D 00040000
	s_or_b32 s33, s33, 0x40000                                 // 000000002BC4: 8721FF21 00040000
	s_or_b32 s13, s13, 0x40000                                 // 000000002BCC: 870DFF0D 00040000
	s_or_b32 s37, s37, 0x40000                                 // 000000002BD4: 8725FF25 00040000
	v_accvgpr_write_b32 a143, 0                                // 000000002BDC: D3D9408F 18000080
	v_mov_b32_e32 v147, 0                                      // 000000002BE4: 7F260280
	s_waitcnt lgkmcnt(0)                                       // 000000002BE8: BF8CC07F
	s_mul_i32 s60, s3, 48                                      // 000000002BEC: 923CB003
	s_cmp_lt_i32 s60, s48                                      // 000000002BF0: BF04303C
	s_cbranch_scc0 label_272E                                  // 000000002BF4: BF8426AD
	s_mov_b32 s80, 0                                           // 000000002BF8: BED00080
	s_lshr_b32 s81, s64, s88                                   // 000000002BFC: 8F515840
	s_mul_i32 s60, s3, 4                                       // 000000002C00: 923C8403
	s_add_u32 s44, s60, s44                                    // 000000002C04: 802C2C3C
	s_addc_u32 s45, 0, s45                                     // 000000002C08: 822D2D80
	s_load_dword s5, s[44:45], 0x0                             // 000000002C0C: C0020156 00000000
	s_mul_i32 s60, s3, 48                                      // 000000002C14: 923CB003
	s_mul_i32 s60, 4, s60                                      // 000000002C18: 923C3C84
	s_add_u32 s12, s60, s12                                    // 000000002C1C: 800C0C3C
	s_addc_u32 s13, 0, s13                                     // 000000002C20: 820D0D80
	v_and_b32_e32 v4, 15, v0                                   // 000000002C24: 2608008F
	v_lshlrev_b32_e32 v4, 2, v4                                // 000000002C28: 24080882
	buffer_load_dword v30, v4, s[12:15], 0 offen               // 000000002C2C: E0501000 80031E04
	v_add_u32_e32 v4, 64, v4                                   // 000000002C34: 680808C0
	buffer_load_dword v31, v4, s[12:15], 0 offen               // 000000002C38: E0501000 80031F04
	v_add_u32_e32 v4, 64, v4                                   // 000000002C40: 680808C0
	buffer_load_dword v32, v4, s[12:15], 0 offen               // 000000002C44: E0501000 80032004
	v_add_u32_e32 v4, 64, v4                                   // 000000002C4C: 680808C0
	s_mul_i32 s60, 4, s7                                       // 000000002C50: 923C0784
	v_lshlrev_b32_e32 v4, 4, v0                                // 000000002C54: 24080084
	v_add_u32_e32 v4, s60, v4                                  // 000000002C58: 6808083C
	buffer_load_dword v3, v4, s[12:15], 0 offen                // 000000002C5C: E0501000 80030304
	v_mov_b32_e32 v52, 0                                       // 000000002C64: 7E680280
	v_mov_b32_e32 v100, 0                                      // 000000002C68: 7EC80280
	v_mov_b32_e32 v53, 0                                       // 000000002C6C: 7E6A0280
	v_mov_b32_e32 v101, 0                                      // 000000002C70: 7ECA0280
	v_mov_b32_e32 v54, 0                                       // 000000002C74: 7E6C0280
	v_mov_b32_e32 v102, 0                                      // 000000002C78: 7ECC0280
	v_mov_b32_e32 v55, 0                                       // 000000002C7C: 7E6E0280
	v_mov_b32_e32 v103, 0                                      // 000000002C80: 7ECE0280
	v_mov_b32_e32 v56, 0                                       // 000000002C84: 7E700280
	v_mov_b32_e32 v104, 0                                      // 000000002C88: 7ED00280
	v_mov_b32_e32 v57, 0                                       // 000000002C8C: 7E720280
	v_mov_b32_e32 v105, 0                                      // 000000002C90: 7ED20280
	v_mov_b32_e32 v58, 0                                       // 000000002C94: 7E740280
	v_mov_b32_e32 v106, 0                                      // 000000002C98: 7ED40280
	v_mov_b32_e32 v59, 0                                       // 000000002C9C: 7E760280
	v_mov_b32_e32 v107, 0                                      // 000000002CA0: 7ED60280
	v_mov_b32_e32 v60, 0                                       // 000000002CA4: 7E780280
	v_mov_b32_e32 v108, 0                                      // 000000002CA8: 7ED80280
	v_mov_b32_e32 v61, 0                                       // 000000002CAC: 7E7A0280
	v_mov_b32_e32 v109, 0                                      // 000000002CB0: 7EDA0280
	v_mov_b32_e32 v62, 0                                       // 000000002CB4: 7E7C0280
	v_mov_b32_e32 v110, 0                                      // 000000002CB8: 7EDC0280
	v_mov_b32_e32 v63, 0                                       // 000000002CBC: 7E7E0280
	v_mov_b32_e32 v111, 0                                      // 000000002CC0: 7EDE0280
	v_mov_b32_e32 v64, 0                                       // 000000002CC4: 7E800280
	v_mov_b32_e32 v112, 0                                      // 000000002CC8: 7EE00280
	v_mov_b32_e32 v65, 0                                       // 000000002CCC: 7E820280
	v_mov_b32_e32 v113, 0                                      // 000000002CD0: 7EE20280
	v_mov_b32_e32 v66, 0                                       // 000000002CD4: 7E840280
	v_mov_b32_e32 v114, 0                                      // 000000002CD8: 7EE40280
	v_mov_b32_e32 v67, 0                                       // 000000002CDC: 7E860280
	v_mov_b32_e32 v115, 0                                      // 000000002CE0: 7EE60280
	v_mov_b32_e32 v68, 0                                       // 000000002CE4: 7E880280
	v_mov_b32_e32 v116, 0                                      // 000000002CE8: 7EE80280
	v_mov_b32_e32 v69, 0                                       // 000000002CEC: 7E8A0280
	v_mov_b32_e32 v117, 0                                      // 000000002CF0: 7EEA0280
	v_mov_b32_e32 v70, 0                                       // 000000002CF4: 7E8C0280
	v_mov_b32_e32 v118, 0                                      // 000000002CF8: 7EEC0280
	v_mov_b32_e32 v71, 0                                       // 000000002CFC: 7E8E0280
	v_mov_b32_e32 v119, 0                                      // 000000002D00: 7EEE0280
	v_mov_b32_e32 v72, 0                                       // 000000002D04: 7E900280
	v_mov_b32_e32 v120, 0                                      // 000000002D08: 7EF00280
	v_mov_b32_e32 v73, 0                                       // 000000002D0C: 7E920280
	v_mov_b32_e32 v121, 0                                      // 000000002D10: 7EF20280
	v_mov_b32_e32 v74, 0                                       // 000000002D14: 7E940280
	v_mov_b32_e32 v122, 0                                      // 000000002D18: 7EF40280
	v_mov_b32_e32 v75, 0                                       // 000000002D1C: 7E960280
	v_mov_b32_e32 v123, 0                                      // 000000002D20: 7EF60280
	v_mov_b32_e32 v76, 0                                       // 000000002D24: 7E980280
	v_mov_b32_e32 v124, 0                                      // 000000002D28: 7EF80280
	v_mov_b32_e32 v77, 0                                       // 000000002D2C: 7E9A0280
	v_mov_b32_e32 v125, 0                                      // 000000002D30: 7EFA0280
	v_mov_b32_e32 v78, 0                                       // 000000002D34: 7E9C0280
	v_mov_b32_e32 v126, 0                                      // 000000002D38: 7EFC0280
	v_mov_b32_e32 v79, 0                                       // 000000002D3C: 7E9E0280
	v_mov_b32_e32 v127, 0                                      // 000000002D40: 7EFE0280
	v_mov_b32_e32 v80, 0                                       // 000000002D44: 7EA00280
	v_mov_b32_e32 v128, 0                                      // 000000002D48: 7F000280
	v_mov_b32_e32 v81, 0                                       // 000000002D4C: 7EA20280
	v_mov_b32_e32 v129, 0                                      // 000000002D50: 7F020280
	v_mov_b32_e32 v82, 0                                       // 000000002D54: 7EA40280
	v_mov_b32_e32 v130, 0                                      // 000000002D58: 7F040280
	v_mov_b32_e32 v83, 0                                       // 000000002D5C: 7EA60280
	v_mov_b32_e32 v131, 0                                      // 000000002D60: 7F060280
	v_mov_b32_e32 v84, 0                                       // 000000002D64: 7EA80280
	v_mov_b32_e32 v132, 0                                      // 000000002D68: 7F080280
	v_mov_b32_e32 v85, 0                                       // 000000002D6C: 7EAA0280
	v_mov_b32_e32 v133, 0                                      // 000000002D70: 7F0A0280
	v_mov_b32_e32 v86, 0                                       // 000000002D74: 7EAC0280
	v_mov_b32_e32 v134, 0                                      // 000000002D78: 7F0C0280
	v_mov_b32_e32 v87, 0                                       // 000000002D7C: 7EAE0280
	v_mov_b32_e32 v135, 0                                      // 000000002D80: 7F0E0280
	v_mov_b32_e32 v88, 0                                       // 000000002D84: 7EB00280
	v_mov_b32_e32 v136, 0                                      // 000000002D88: 7F100280
	v_mov_b32_e32 v89, 0                                       // 000000002D8C: 7EB20280
	v_mov_b32_e32 v137, 0                                      // 000000002D90: 7F120280
	v_mov_b32_e32 v90, 0                                       // 000000002D94: 7EB40280
	v_mov_b32_e32 v138, 0                                      // 000000002D98: 7F140280
	v_mov_b32_e32 v91, 0                                       // 000000002D9C: 7EB60280
	v_mov_b32_e32 v139, 0                                      // 000000002DA0: 7F160280
	v_mov_b32_e32 v92, 0                                       // 000000002DA4: 7EB80280
	v_mov_b32_e32 v140, 0                                      // 000000002DA8: 7F180280
	v_mov_b32_e32 v93, 0                                       // 000000002DAC: 7EBA0280
	v_mov_b32_e32 v141, 0                                      // 000000002DB0: 7F1A0280
	v_mov_b32_e32 v94, 0                                       // 000000002DB4: 7EBC0280
	v_mov_b32_e32 v142, 0                                      // 000000002DB8: 7F1C0280
	v_mov_b32_e32 v95, 0                                       // 000000002DBC: 7EBE0280
	v_mov_b32_e32 v143, 0                                      // 000000002DC0: 7F1E0280
	v_mov_b32_e32 v96, 0                                       // 000000002DC4: 7EC00280
	v_mov_b32_e32 v144, 0                                      // 000000002DC8: 7F200280
	v_mov_b32_e32 v97, 0                                       // 000000002DCC: 7EC20280
	v_mov_b32_e32 v145, 0                                      // 000000002DD0: 7F220280
	v_mov_b32_e32 v98, 0                                       // 000000002DD4: 7EC40280
	v_mov_b32_e32 v146, 0                                      // 000000002DD8: 7F240280
	v_mov_b32_e32 v99, 0                                       // 000000002DDC: 7EC60280
	v_mov_b32_e32 v147, 0                                      // 000000002DE0: 7F260280
	s_mul_i32 s60, s2, 0x200                                   // 000000002DE4: 923CFF02 00000200
	s_cmp_eq_u32 s88, 0                                        // 000000002DEC: BF068058
	s_cselect_b32 s61, 1, 2                                    // 000000002DF0: 853D8281
	s_mul_i32 s60, s60, s61                                    // 000000002DF4: 923C3D3C
	s_mov_b32 s90, s8                                          // 000000002DF8: BEDA0008
	s_mov_b32 s91, s9                                          // 000000002DFC: BEDB0009
	s_add_u32 s8, s60, s8                                      // 000000002E00: 8008083C
	s_addc_u32 s9, 0, s9                                       // 000000002E04: 82090980
	v_lshrrev_b32_e32 v4, 4, v0                                // 000000002E08: 20080084
	v_mul_lo_u32 v20, 34, v4                                   // 000000002E0C: D2850014 000208A2
	v_and_b32_e32 v4, 15, v0                                   // 000000002E14: 2608008F
	v_mul_lo_u32 v5, 2, v4                                     // 000000002E18: D2850005 00020882
	v_add_u32_e32 v20, v5, v20                                 // 000000002E20: 68282905
	s_mul_i32 s60, s7, 0x88                                    // 000000002E24: 923CFF07 00000088
	v_add_u32_e32 v20, s60, v20                                // 000000002E2C: 6828283C
	v_lshlrev_b32_e32 v20, 2, v20                              // 000000002E30: 24282882
	v_and_b32_e32 v4, 31, v0                                   // 000000002E34: 2608009F
	v_lshrrev_b32_e32 v4, 1, v4                                // 000000002E38: 20080881
	v_mul_lo_u32 v21, 34, v4                                   // 000000002E3C: D2850015 000208A2
	v_lshrrev_b32_e32 v4, 5, v0                                // 000000002E44: 20080085
	v_mul_lo_u32 v4, 8, v4                                     // 000000002E48: D2850004 00020888
	v_add_u32_e32 v21, v21, v4                                 // 000000002E50: 682A0915
	v_and_b32_e32 v5, 1, v0                                    // 000000002E54: 260A0081
	v_add_u32_e32 v21, v5, v21                                 // 000000002E58: 682A2B05
	s_mul_i32 s60, s7, 2                                       // 000000002E5C: 923C8207
	v_add_u32_e32 v21, s60, v21                                // 000000002E60: 682A2A3C
	v_lshlrev_b32_e32 v21, 2, v21                              // 000000002E64: 242A2A82
	s_mul_i32 s60, s7, 0x620                                   // 000000002E68: 923CFF07 00000620
	s_add_u32 s48, 0, s60                                      // 000000002E70: 80303C80
	s_add_u32 s49, 0x1880, s48                                 // 000000002E74: 803130FF 00001880
	s_add_u32 s50, 0x1880, s49                                 // 000000002E7C: 803231FF 00001880
	v_lshrrev_b32_e32 v4, 4, v0                                // 000000002E84: 20080084
	v_lshlrev_b32_e32 v5, 2, v4                                // 000000002E88: 240A0882
	v_and_b32_e32 v4, 15, v0                                   // 000000002E8C: 2608008F
	v_lshrrev_b32_e32 v6, 2, v4                                // 000000002E90: 200C0882
	v_lshlrev_b32_e32 v6, 5, v6                                // 000000002E94: 240C0C85
	v_add_u32_e32 v5, v6, v5                                   // 000000002E98: 680A0B06
	v_and_b32_e32 v4, 3, v0                                    // 000000002E9C: 26080083
	v_mul_u32_u24_e32 v6, 0x188, v4                            // 000000002EA0: 100C08FF 00000188
	v_add_u32_e32 v5, v6, v5                                   // 000000002EA8: 680A0B06
	v_lshlrev_b32_e32 v2, 2, v5                                // 000000002EAC: 24040A82
	s_waitcnt lgkmcnt(0)                                       // 000000002EB0: BF8CC07F
	s_mul_i32 s60, s2, 0x100                                   // 000000002EB4: 923CFF02 00000100
	s_mul_i32 s60, s60, s69                                    // 000000002EBC: 923C453C
	s_mul_i32 s61, s5, s72                                     // 000000002EC0: 923D4805
	s_add_u32 s60, s61, s60                                    // 000000002EC4: 803C3C3D
	s_add_u32 s24, s60, s24                                    // 000000002EC8: 8018183C
	s_addc_u32 s25, 0, s25                                     // 000000002ECC: 82191980
	s_lshr_b32 s60, s64, s88                                   // 000000002ED0: 8F3C5840
	s_mul_i32 s60, s4, s60                                     // 000000002ED4: 923C3C04
	s_lshr_b32 s60, s60, 7                                     // 000000002ED8: 8F3C873C
	s_mul_i32 s60, s60, 0x800                                  // 000000002EDC: 923CFF3C 00000800
	s_add_u32 s24, s60, s24                                    // 000000002EE4: 8018183C
	s_addc_u32 s25, 0, s25                                     // 000000002EE8: 82191980
	s_lshr_b32 s60, s69, s88                                   // 000000002EEC: 8F3C5845
	s_mul_i32 s60, s4, s60                                     // 000000002EF0: 923C3C04
	s_add_u32 s20, s60, s20                                    // 000000002EF4: 8014143C
	s_addc_u32 s21, 0, s21                                     // 000000002EF8: 82151580
	s_mul_i32 s60, s7, 16                                      // 000000002EFC: 923C9007
	s_mul_i32 s60, s60, s69                                    // 000000002F00: 923C453C
	v_lshlrev_b32_e32 v48, 4, v0                               // 000000002F04: 24600084
	v_add_u32_e32 v48, s60, v48                                // 000000002F08: 6860603C
	s_mul_i32 s60, 64, s69                                     // 000000002F0C: 923C45C0
	v_add_u32_e32 v49, s60, v48                                // 000000002F10: 6862603C
	v_add_u32_e32 v50, s60, v49                                // 000000002F14: 6864623C
	v_add_u32_e32 v51, s60, v50                                // 000000002F18: 6866643C
	s_mov_b32 s84, s24                                         // 000000002F1C: BED40018
	s_mov_b32 s85, s25                                         // 000000002F20: BED50019
	s_mov_b32 s86, s26                                         // 000000002F24: BED6001A
	s_mov_b32 s87, s27                                         // 000000002F28: BED7001B
	s_mul_i32 s60, s69, s65                                    // 000000002F2C: 923C4145
	s_add_u32 s84, s60, s84                                    // 000000002F30: 8054543C
	s_addc_u32 s85, 0, s85                                     // 000000002F34: 82555580
	v_lshrrev_b32_e32 v4, 4, v0                                // 000000002F38: 20080084
	v_lshlrev_b32_e32 v5, 2, v4                                // 000000002F3C: 240A0882
	v_and_b32_e32 v4, 15, v0                                   // 000000002F40: 2608008F
	v_lshrrev_b32_e32 v6, 2, v4                                // 000000002F44: 200C0882
	v_lshlrev_b32_e32 v6, 6, v6                                // 000000002F48: 240C0C86
	v_add_u32_e32 v5, v6, v5                                   // 000000002F4C: 680A0B06
	v_and_b32_e32 v4, 3, v0                                    // 000000002F50: 26080083
	v_add_u32_e32 v5, v4, v5                                   // 000000002F54: 680A0B04
	v_lshlrev_b32_e32 v22, 2, v5                               // 000000002F58: 242C0A82
	s_mul_i32 s60, s7, 16                                      // 000000002F5C: 923C9007
	s_mul_i32 s60, s60, 4                                      // 000000002F60: 923C843C
	v_add_u32_e32 v22, s60, v22                                // 000000002F64: 682C2C3C
	s_mul_i32 s60, s2, 0x100                                   // 000000002F68: 923CFF02 00000100
	s_mul_i32 s60, s60, 4                                      // 000000002F70: 923C843C
	s_mul_i32 s61, s5, s74                                     // 000000002F74: 923D4A05
	s_add_u32 s61, s61, s60                                    // 000000002F78: 803D3C3D
	s_add_u32 s32, s61, s32                                    // 000000002F7C: 8020203D
	s_addc_u32 s33, 0, s33                                     // 000000002F80: 82212180
	s_mov_b32 s57, 0x80                                        // 000000002F84: BEB900FF 00000080
	s_mov_b32 s58, 0x800                                       // 000000002F8C: BEBA00FF 00000800
	s_mov_b32 s83, s58                                         // 000000002F94: BED3003A
	s_mov_b32 s52, 0x7060302                                   // 000000002F98: BEB400FF 07060302
	s_mov_b32 s53, 0x400                                       // 000000002FA0: BEB500FF 00000400
	s_mov_b32 s54, 0x40100                                     // 000000002FA8: BEB600FF 00040100
	s_mov_b32 s55, 0x4020100                                   // 000000002FB0: BEB700FF 04020100
	s_mov_b32 s6, 0x3fb8aa3b                                   // 000000002FB8: BE8600FF 3FB8AA3B
	s_mov_b32 s78, 0xbd92220c                                  // 000000002FC0: BECE00FF BD92220C
	s_mov_b32 s79, 0xbd92220c                                  // 000000002FC8: BECF00FF BD92220C
	s_mov_b32 m0, s48                                          // 000000002FD0: BEFC0030
	v_mov_b32_e32 v1, 0xbfcc4231                               // 000000002FD4: 7E0202FF BFCC4231
	v_mov_b32_e32 v17, 0xffff0000                              // 000000002FDC: 7E2202FF FFFF0000
	v_mov_b32_e32 v18, 0x7fff0000                              // 000000002FE4: 7E2402FF 7FFF0000
	v_mov_b32_e32 v19, 0x7fff                                  // 000000002FEC: 7E2602FF 00007FFF
	s_waitcnt vmcnt(0) expcnt(0) lgkmcnt(0)                    // 000000002FF4: BF8C0000
	v_lshrrev_b32_e32 v4, 5, v0                                // 000000002FF8: 20080085
	v_xor_b32_e32 v5, 1, v4                                    // 000000002FFC: 2A0A0881
	v_readlane_b32 s82, v3, 0                                  // 000000003000: D2890052 00010103
	s_and_b32 s82, s82, 0xffffff                               // 000000003008: 8652FF52 00FFFFFF
	v_mul_lo_u32 v6, v5, s82                                   // 000000003010: D2850006 0000A505
	v_readlane_b32 s82, v3, 1                                  // 000000003018: D2890052 00010303
	s_and_b32 s82, s82, 0xffffff                               // 000000003020: 8652FF52 00FFFFFF
	v_mul_lo_u32 v7, v4, s82                                   // 000000003028: D2850007 0000A504
	v_add_u32_e32 v42, v6, v7                                  // 000000003030: 68540F06
	v_mul_lo_u32 v42, v42, s68                                 // 000000003034: D285002A 0000892A
	v_readlane_b32 s82, v3, 2                                  // 00000000303C: D2890052 00010503
	s_and_b32 s82, s82, 0xffffff                               // 000000003044: 8652FF52 00FFFFFF
	v_mul_lo_u32 v6, v5, s82                                   // 00000000304C: D2850006 0000A505
	v_readlane_b32 s82, v3, 3                                  // 000000003054: D2890052 00010703
	s_and_b32 s82, s82, 0xffffff                               // 00000000305C: 8652FF52 00FFFFFF
	v_mul_lo_u32 v7, v4, s82                                   // 000000003064: D2850007 0000A504
	v_add_u32_e32 v43, v6, v7                                  // 00000000306C: 68560F06
	v_mul_lo_u32 v43, v43, s68                                 // 000000003070: D285002B 0000892B
	v_readlane_b32 s82, v3, 4                                  // 000000003078: D2890052 00010903
	s_and_b32 s82, s82, 0xffffff                               // 000000003080: 8652FF52 00FFFFFF
	v_mul_lo_u32 v6, v5, s82                                   // 000000003088: D2850006 0000A505
	v_readlane_b32 s82, v3, 5                                  // 000000003090: D2890052 00010B03
	s_and_b32 s82, s82, 0xffffff                               // 000000003098: 8652FF52 00FFFFFF
	v_mul_lo_u32 v7, v4, s82                                   // 0000000030A0: D2850007 0000A504
	v_add_u32_e32 v44, v6, v7                                  // 0000000030A8: 68580F06
	v_mul_lo_u32 v44, v44, s68                                 // 0000000030AC: D285002C 0000892C
	v_readlane_b32 s82, v3, 6                                  // 0000000030B4: D2890052 00010D03
	s_and_b32 s82, s82, 0xffffff                               // 0000000030BC: 8652FF52 00FFFFFF
	v_mul_lo_u32 v6, v5, s82                                   // 0000000030C4: D2850006 0000A505
	v_readlane_b32 s82, v3, 7                                  // 0000000030CC: D2890052 00010F03
	s_and_b32 s82, s82, 0xffffff                               // 0000000030D4: 8652FF52 00FFFFFF
	v_mul_lo_u32 v7, v4, s82                                   // 0000000030DC: D2850007 0000A504
	v_add_u32_e32 v45, v6, v7                                  // 0000000030E4: 685A0F06
	v_mul_lo_u32 v45, v45, s68                                 // 0000000030E8: D285002D 0000892D
	v_readlane_b32 s82, v3, 8                                  // 0000000030F0: D2890052 00011103
	s_and_b32 s82, s82, 0xffffff                               // 0000000030F8: 8652FF52 00FFFFFF
	v_mul_lo_u32 v6, v5, s82                                   // 000000003100: D2850006 0000A505
	v_readlane_b32 s82, v3, 9                                  // 000000003108: D2890052 00011303
	s_and_b32 s82, s82, 0xffffff                               // 000000003110: 8652FF52 00FFFFFF
	v_mul_lo_u32 v7, v4, s82                                   // 000000003118: D2850007 0000A504
	v_add_u32_e32 v46, v6, v7                                  // 000000003120: 685C0F06
	v_mul_lo_u32 v46, v46, s68                                 // 000000003124: D285002E 0000892E
	v_readlane_b32 s82, v3, 10                                 // 00000000312C: D2890052 00011503
	s_and_b32 s82, s82, 0xffffff                               // 000000003134: 8652FF52 00FFFFFF
	v_mul_lo_u32 v6, v5, s82                                   // 00000000313C: D2850006 0000A505
	v_readlane_b32 s82, v3, 11                                 // 000000003144: D2890052 00011703
	s_and_b32 s82, s82, 0xffffff                               // 00000000314C: 8652FF52 00FFFFFF
	v_mul_lo_u32 v7, v4, s82                                   // 000000003154: D2850007 0000A504
	v_add_u32_e32 v47, v6, v7                                  // 00000000315C: 685E0F06
	v_mul_lo_u32 v47, v47, s68                                 // 000000003160: D285002F 0000892F
	v_and_b32_e32 v4, 31, v0                                   // 000000003168: 2608009F
	v_lshlrev_b32_e32 v4, 2, v4                                // 00000000316C: 24080882
	v_add_u32_e32 v42, v42, v4                                 // 000000003170: 6854092A
	v_add_u32_e32 v43, v43, v4                                 // 000000003174: 6856092B
	v_add_u32_e32 v44, v44, v4                                 // 000000003178: 6858092C
	v_add_u32_e32 v45, v45, v4                                 // 00000000317C: 685A092D
	v_add_u32_e32 v46, v46, v4                                 // 000000003180: 685C092E
	v_add_u32_e32 v47, v47, v4                                 // 000000003184: 685E092F
	v_and_b32_e32 v30, 0xffffff, v30                           // 000000003188: 263C3CFF 00FFFFFF
	v_lshlrev_b32_e32 v30, 2, v30                              // 000000003190: 243C3C82
	v_and_b32_e32 v31, 0xffffff, v31                           // 000000003194: 263E3EFF 00FFFFFF
	v_lshlrev_b32_e32 v31, 2, v31                              // 00000000319C: 243E3E82
	v_and_b32_e32 v32, 0xffffff, v32                           // 0000000031A0: 264040FF 00FFFFFF
	v_lshlrev_b32_e32 v32, 2, v32                              // 0000000031A8: 24404082
	s_lshl_b32 s3, s66, 2                                      // 0000000031AC: 8E038242
	buffer_load_dword v33, v30, s[28:31], 0 offen              // 0000000031B0: E0501000 8007211E
	buffer_load_dword v34, v31, s[28:31], 0 offen              // 0000000031B8: E0501000 8007221F
	buffer_load_dword v35, v32, s[28:31], 0 offen              // 0000000031C0: E0501000 80072320
	buffer_load_dword v24, v22, s[32:35], 0 offen              // 0000000031C8: E0501000 80081816
	s_mul_i32 s60, 4, s65                                      // 0000000031D0: 923C4184
	s_add_u32 s32, s60, s32                                    // 0000000031D4: 8020203C
	s_addc_u32 s33, 0, s33                                     // 0000000031D8: 82212180
	buffer_load_dword v27, v22, s[32:35], 0 offen              // 0000000031DC: E0501000 80081B16
	buffer_load_dword v42, s[20:23], 0 offen lds               // 0000000031E4: E0511000 8005002A
	s_add_u32 m0, 0x100, s48                                   // 0000000031EC: 807C30FF 00000100
	buffer_load_dword v43, s[20:23], 0 offen lds               // 0000000031F4: E0511000 8005002B
	s_add_u32 m0, 0x200, s48                                   // 0000000031FC: 807C30FF 00000200
	buffer_load_dword v44, s[20:23], 0 offen lds               // 000000003204: E0511000 8005002C
	s_add_u32 m0, 0x300, s48                                   // 00000000320C: 807C30FF 00000300
	buffer_load_dword v45, s[20:23], 0 offen lds               // 000000003214: E0511000 8005002D
	s_add_u32 m0, 0x400, s48                                   // 00000000321C: 807C30FF 00000400
	buffer_load_dword v46, s[20:23], 0 offen lds               // 000000003224: E0511000 8005002E
	s_add_u32 m0, 0x500, s48                                   // 00000000322C: 807C30FF 00000500
	buffer_load_dword v47, s[20:23], 0 offen lds               // 000000003234: E0511000 8005002F
	s_add_u32 m0, 0, s49                                       // 00000000323C: 807C3180
	s_add_u32 s20, s57, s20                                    // 000000003240: 80141439
	s_addc_u32 s21, 0, s21                                     // 000000003244: 82151580
	buffer_load_dwordx4 a[48:51], v48, s[24:27], 0 offen       // 000000003248: E05C1000 80863030
	buffer_load_dwordx4 a[52:55], v48, s[24:27], 0 offen offset:1024// 000000003250: E05C1400 80863430
	buffer_load_dwordx4 a[56:59], v49, s[24:27], 0 offen       // 000000003258: E05C1000 80863831
	buffer_load_dwordx4 a[60:63], v49, s[24:27], 0 offen offset:1024// 000000003260: E05C1400 80863C31
	buffer_load_dwordx4 a[64:67], v50, s[24:27], 0 offen       // 000000003268: E05C1000 80864032
	buffer_load_dwordx4 a[68:71], v50, s[24:27], 0 offen offset:1024// 000000003270: E05C1400 80864432
	buffer_load_dwordx4 a[72:75], v51, s[24:27], 0 offen       // 000000003278: E05C1000 80864833
	buffer_load_dwordx4 a[76:79], v51, s[24:27], 0 offen offset:1024// 000000003280: E05C1400 80864C33
	s_add_u32 s24, s58, s24                                    // 000000003288: 8018183A
	s_addc_u32 s25, 0, s25                                     // 00000000328C: 82191980
	buffer_load_dword v42, s[20:23], 0 offen lds               // 000000003290: E0511000 8005002A
	s_add_u32 m0, 0x100, s49                                   // 000000003298: 807C31FF 00000100
	buffer_load_dword v43, s[20:23], 0 offen lds               // 0000000032A0: E0511000 8005002B
	s_add_u32 m0, 0x200, s49                                   // 0000000032A8: 807C31FF 00000200
	buffer_load_dword v44, s[20:23], 0 offen lds               // 0000000032B0: E0511000 8005002C
	s_add_u32 m0, 0x300, s49                                   // 0000000032B8: 807C31FF 00000300
	buffer_load_dword v45, s[20:23], 0 offen lds               // 0000000032C0: E0511000 8005002D
	s_add_u32 m0, 0x400, s49                                   // 0000000032C8: 807C31FF 00000400
	buffer_load_dword v46, s[20:23], 0 offen lds               // 0000000032D0: E0511000 8005002E
	s_add_u32 m0, 0x500, s49                                   // 0000000032D8: 807C31FF 00000500
	buffer_load_dword v47, s[20:23], 0 offen lds               // 0000000032E0: E0511000 8005002F
	s_add_u32 m0, 0, s50                                       // 0000000032E8: 807C3280
	s_add_u32 s20, s57, s20                                    // 0000000032EC: 80141439
	s_addc_u32 s21, 0, s21                                     // 0000000032F0: 82151580
	buffer_load_dwordx4 a[80:83], v48, s[84:87], 0 offen       // 0000000032F4: E05C1000 80955030
	buffer_load_dwordx4 a[84:87], v48, s[84:87], 0 offen offset:1024// 0000000032FC: E05C1400 80955430
	buffer_load_dwordx4 a[88:91], v49, s[84:87], 0 offen       // 000000003304: E05C1000 80955831
	buffer_load_dwordx4 a[92:95], v49, s[84:87], 0 offen offset:1024// 00000000330C: E05C1400 80955C31
	buffer_load_dwordx4 a[96:99], v50, s[84:87], 0 offen       // 000000003314: E05C1000 80956032
	buffer_load_dwordx4 a[100:103], v50, s[84:87], 0 offen offset:1024// 00000000331C: E05C1400 80956432
	buffer_load_dwordx4 a[104:107], v51, s[84:87], 0 offen     // 000000003324: E05C1000 80956833
	buffer_load_dwordx4 a[108:111], v51, s[84:87], 0 offen offset:1024// 00000000332C: E05C1400 80956C33
	s_add_u32 s84, s83, s84                                    // 000000003334: 80545453
	s_addc_u32 s85, 0, s85                                     // 000000003338: 82555580
	s_waitcnt vmcnt(22)                                        // 00000000333C: BF8C4F76
	s_barrier                                                  // 000000003340: BF8A0000
	ds_read_b128 a[0:3], v2                                    // 000000003344: DBFE0000 00000002
	ds_read_b128 a[4:7], v2 offset:64                          // 00000000334C: DBFE0040 04000002
	ds_read_b128 a[8:11], v2 offset:512                        // 000000003354: DBFE0200 08000002
	ds_read_b128 a[12:15], v2 offset:576                       // 00000000335C: DBFE0240 0C000002
	ds_read_b128 a[16:19], v2 offset:1024                      // 000000003364: DBFE0400 10000002
	ds_read_b128 a[20:23], v2 offset:1088                      // 00000000336C: DBFE0440 14000002
	s_cmp_lt_i32 s7, 2                                         // 000000003374: BF048207
	s_cbranch_scc0 label_14C8                                  // 000000003378: BF841266

000000000000337c <label_025F>:
	s_waitcnt vmcnt(14) lgkmcnt(0)                             // 00000000337C: BF8C007E
	v_mfma_i32_16x16x32_i8 v[52:55], a[48:49], a[0:1], v[52:55]// 000000003380: D3D70034 1CD20130
	v_mfma_i32_16x16x32_i8 v[52:55], a[50:51], a[2:3], v[52:55]// 000000003388: D3D70034 1CD20532
	buffer_load_dwordx4 a[112:115], v48, s[24:27], 0 offen     // 000000003390: E05C1000 80867030
	v_mfma_i32_16x16x32_i8 v[52:55], a[52:53], a[4:5], v[52:55]// 000000003398: D3D70034 1CD20934
	v_mfma_i32_16x16x32_i8 v[52:55], a[54:55], a[6:7], v[52:55]// 0000000033A0: D3D70034 1CD20D36
	v_mfma_i32_16x16x32_i8 v[64:67], a[56:57], a[0:1], v[64:67]// 0000000033A8: D3D70040 1D020138
	v_mfma_i32_16x16x32_i8 v[64:67], a[58:59], a[2:3], v[64:67]// 0000000033B0: D3D70040 1D02053A
	buffer_load_dwordx4 a[116:119], v48, s[24:27], 0 offen offset:1024// 0000000033B8: E05C1400 80867430
	v_mfma_i32_16x16x32_i8 v[64:67], a[60:61], a[4:5], v[64:67]// 0000000033C0: D3D70040 1D02093C
	v_mfma_i32_16x16x32_i8 v[64:67], a[62:63], a[6:7], v[64:67]// 0000000033C8: D3D70040 1D020D3E
	v_mfma_i32_16x16x32_i8 v[76:79], a[64:65], a[0:1], v[76:79]// 0000000033D0: D3D7004C 1D320140
	v_mfma_i32_16x16x32_i8 v[76:79], a[66:67], a[2:3], v[76:79]// 0000000033D8: D3D7004C 1D320542
	buffer_load_dwordx4 a[120:123], v49, s[24:27], 0 offen     // 0000000033E0: E05C1000 80867831
	v_mfma_i32_16x16x32_i8 v[76:79], a[68:69], a[4:5], v[76:79]// 0000000033E8: D3D7004C 1D320944
	v_mfma_i32_16x16x32_i8 v[76:79], a[70:71], a[6:7], v[76:79]// 0000000033F0: D3D7004C 1D320D46
	v_mfma_i32_16x16x32_i8 v[88:91], a[72:73], a[0:1], v[88:91]// 0000000033F8: D3D70058 1D620148
	v_mfma_i32_16x16x32_i8 v[88:91], a[74:75], a[2:3], v[88:91]// 000000003400: D3D70058 1D62054A
	buffer_load_dwordx4 a[124:127], v49, s[24:27], 0 offen offset:1024// 000000003408: E05C1400 80867C31
	v_mfma_i32_16x16x32_i8 v[88:91], a[76:77], a[4:5], v[88:91]// 000000003410: D3D70058 1D62094C
	v_mfma_i32_16x16x32_i8 v[88:91], a[78:79], a[6:7], v[88:91]// 000000003418: D3D70058 1D620D4E
	v_mfma_i32_16x16x32_i8 v[56:59], a[48:49], a[8:9], v[56:59]// 000000003420: D3D70038 1CE21130
	v_mfma_i32_16x16x32_i8 v[56:59], a[50:51], a[10:11], v[56:59]// 000000003428: D3D70038 1CE21532
	buffer_load_dwordx4 a[128:131], v50, s[24:27], 0 offen     // 000000003430: E05C1000 80868032
	v_mfma_i32_16x16x32_i8 v[56:59], a[52:53], a[12:13], v[56:59]// 000000003438: D3D70038 1CE21934
	v_mfma_i32_16x16x32_i8 v[56:59], a[54:55], a[14:15], v[56:59]// 000000003440: D3D70038 1CE21D36
	v_mfma_i32_16x16x32_i8 v[68:71], a[56:57], a[8:9], v[68:71]// 000000003448: D3D70044 1D121138
	v_mfma_i32_16x16x32_i8 v[68:71], a[58:59], a[10:11], v[68:71]// 000000003450: D3D70044 1D12153A
	buffer_load_dwordx4 a[132:135], v50, s[24:27], 0 offen offset:1024// 000000003458: E05C1400 80868432
	v_mfma_i32_16x16x32_i8 v[68:71], a[60:61], a[12:13], v[68:71]// 000000003460: D3D70044 1D12193C
	v_mfma_i32_16x16x32_i8 v[68:71], a[62:63], a[14:15], v[68:71]// 000000003468: D3D70044 1D121D3E
	v_mfma_i32_16x16x32_i8 v[80:83], a[64:65], a[8:9], v[80:83]// 000000003470: D3D70050 1D421140
	v_mfma_i32_16x16x32_i8 v[80:83], a[66:67], a[10:11], v[80:83]// 000000003478: D3D70050 1D421542
	buffer_load_dwordx4 a[136:139], v51, s[24:27], 0 offen     // 000000003480: E05C1000 80868833
	v_mfma_i32_16x16x32_i8 v[80:83], a[68:69], a[12:13], v[80:83]// 000000003488: D3D70050 1D421944
	v_mfma_i32_16x16x32_i8 v[80:83], a[70:71], a[14:15], v[80:83]// 000000003490: D3D70050 1D421D46
	v_mfma_i32_16x16x32_i8 v[92:95], a[72:73], a[8:9], v[92:95]// 000000003498: D3D7005C 1D721148
	v_mfma_i32_16x16x32_i8 v[92:95], a[74:75], a[10:11], v[92:95]// 0000000034A0: D3D7005C 1D72154A
	buffer_load_dwordx4 a[140:143], v51, s[24:27], 0 offen offset:1024// 0000000034A8: E05C1400 80868C33
	buffer_load_dword v42, s[20:23], 0 offen lds               // 0000000034B0: E0511000 8005002A
	s_add_u32 m0, 0x100, s50                                   // 0000000034B8: 807C32FF 00000100
	v_mfma_i32_16x16x32_i8 v[92:95], a[76:77], a[12:13], v[92:95]// 0000000034C0: D3D7005C 1D72194C
	v_mfma_i32_16x16x32_i8 v[92:95], a[78:79], a[14:15], v[92:95]// 0000000034C8: D3D7005C 1D721D4E
	buffer_load_dword v43, s[20:23], 0 offen lds               // 0000000034D0: E0511000 8005002B
	s_add_u32 m0, 0x200, s50                                   // 0000000034D8: 807C32FF 00000200
	v_mfma_i32_16x16x32_i8 v[60:63], a[48:49], a[16:17], v[60:63]// 0000000034E0: D3D7003C 1CF22130
	v_mfma_i32_16x16x32_i8 v[60:63], a[50:51], a[18:19], v[60:63]// 0000000034E8: D3D7003C 1CF22532
	buffer_load_dword v44, s[20:23], 0 offen lds               // 0000000034F0: E0511000 8005002C
	s_add_u32 m0, 0x300, s50                                   // 0000000034F8: 807C32FF 00000300
	v_mfma_i32_16x16x32_i8 v[60:63], a[52:53], a[20:21], v[60:63]// 000000003500: D3D7003C 1CF22934
	v_mfma_i32_16x16x32_i8 v[60:63], a[54:55], a[22:23], v[60:63]// 000000003508: D3D7003C 1CF22D36
	buffer_load_dword v45, s[20:23], 0 offen lds               // 000000003510: E0511000 8005002D
	s_add_u32 m0, 0x400, s50                                   // 000000003518: 807C32FF 00000400
	v_mfma_i32_16x16x32_i8 v[72:75], a[56:57], a[16:17], v[72:75]// 000000003520: D3D70048 1D222138
	v_mfma_i32_16x16x32_i8 v[72:75], a[58:59], a[18:19], v[72:75]// 000000003528: D3D70048 1D22253A
	buffer_load_dword v46, s[20:23], 0 offen lds               // 000000003530: E0511000 8005002E
	s_add_u32 m0, 0x500, s50                                   // 000000003538: 807C32FF 00000500
	v_mfma_i32_16x16x32_i8 v[72:75], a[60:61], a[20:21], v[72:75]// 000000003540: D3D70048 1D22293C
	v_mfma_i32_16x16x32_i8 v[72:75], a[62:63], a[22:23], v[72:75]// 000000003548: D3D70048 1D222D3E
	buffer_load_dword v47, s[20:23], 0 offen lds               // 000000003550: E0511000 8005002F
	s_add_u32 m0, 0, s48                                       // 000000003558: 807C3080
	v_mfma_i32_16x16x32_i8 v[84:87], a[64:65], a[16:17], v[84:87]// 00000000355C: D3D70054 1D522140
	v_mfma_i32_16x16x32_i8 v[84:87], a[66:67], a[18:19], v[84:87]// 000000003564: D3D70054 1D522542
	v_mfma_i32_16x16x32_i8 v[84:87], a[68:69], a[20:21], v[84:87]// 00000000356C: D3D70054 1D522944
	v_mfma_i32_16x16x32_i8 v[84:87], a[70:71], a[22:23], v[84:87]// 000000003574: D3D70054 1D522D46
	v_mfma_i32_16x16x32_i8 v[96:99], a[72:73], a[16:17], v[96:99]// 00000000357C: D3D70060 1D822148
	v_mfma_i32_16x16x32_i8 v[96:99], a[74:75], a[18:19], v[96:99]// 000000003584: D3D70060 1D82254A
	v_mfma_i32_16x16x32_i8 v[96:99], a[76:77], a[20:21], v[96:99]// 00000000358C: D3D70060 1D82294C
	v_mfma_i32_16x16x32_i8 v[96:99], a[78:79], a[22:23], v[96:99]// 000000003594: D3D70060 1D822D4E
	s_waitcnt vmcnt(14)                                        // 00000000359C: BF8C0F7E
	s_barrier                                                  // 0000000035A0: BF8A0000
	v_mfma_i32_16x16x32_i8 v[100:103], a[80:81], a[0:1], v[100:103]// 0000000035A4: D3D70064 1D920150
	v_mfma_i32_16x16x32_i8 v[100:103], a[82:83], a[2:3], v[100:103]// 0000000035AC: D3D70064 1D920552
	buffer_load_dwordx4 a[48:51], v48, s[84:87], 0 offen       // 0000000035B4: E05C1000 80953030
	v_mfma_i32_16x16x32_i8 v[100:103], a[84:85], a[4:5], v[100:103]// 0000000035BC: D3D70064 1D920954
	v_mfma_i32_16x16x32_i8 v[100:103], a[86:87], a[6:7], v[100:103]// 0000000035C4: D3D70064 1D920D56
	ds_read_b128 a[24:27], v2 offset:6272                      // 0000000035CC: DBFE1880 18000002
	ds_read_b128 a[28:31], v2 offset:6336                      // 0000000035D4: DBFE18C0 1C000002
	v_mfma_i32_16x16x32_i8 v[112:115], a[88:89], a[0:1], v[112:115]// 0000000035DC: D3D70070 1DC20158
	v_mfma_i32_16x16x32_i8 v[112:115], a[90:91], a[2:3], v[112:115]// 0000000035E4: D3D70070 1DC2055A
	buffer_load_dwordx4 a[52:55], v48, s[84:87], 0 offen offset:1024// 0000000035EC: E05C1400 80953430
	v_mfma_i32_16x16x32_i8 v[112:115], a[92:93], a[4:5], v[112:115]// 0000000035F4: D3D70070 1DC2095C
	v_mfma_i32_16x16x32_i8 v[112:115], a[94:95], a[6:7], v[112:115]// 0000000035FC: D3D70070 1DC20D5E
	ds_read_b128 a[32:35], v2 offset:6784                      // 000000003604: DBFE1A80 20000002
	ds_read_b128 a[36:39], v2 offset:6848                      // 00000000360C: DBFE1AC0 24000002
	v_mfma_i32_16x16x32_i8 v[124:127], a[96:97], a[0:1], v[124:127]// 000000003614: D3D7007C 1DF20160
	v_mfma_i32_16x16x32_i8 v[124:127], a[98:99], a[2:3], v[124:127]// 00000000361C: D3D7007C 1DF20562
	buffer_load_dwordx4 a[56:59], v49, s[84:87], 0 offen       // 000000003624: E05C1000 80953831
	v_mfma_i32_16x16x32_i8 v[124:127], a[100:101], a[4:5], v[124:127]// 00000000362C: D3D7007C 1DF20964
	v_mfma_i32_16x16x32_i8 v[124:127], a[102:103], a[6:7], v[124:127]// 000000003634: D3D7007C 1DF20D66
	ds_read_b128 a[40:43], v2 offset:7296                      // 00000000363C: DBFE1C80 28000002
	ds_read_b128 a[44:47], v2 offset:7360                      // 000000003644: DBFE1CC0 2C000002
	v_mfma_i32_16x16x32_i8 v[136:139], a[104:105], a[0:1], v[136:139]// 00000000364C: D3D70088 1E220168
	v_mfma_i32_16x16x32_i8 v[136:139], a[106:107], a[2:3], v[136:139]// 000000003654: D3D70088 1E22056A
	buffer_load_dwordx4 a[60:63], v49, s[84:87], 0 offen offset:1024// 00000000365C: E05C1400 80953C31
	v_mfma_i32_16x16x32_i8 v[136:139], a[108:109], a[4:5], v[136:139]// 000000003664: D3D70088 1E22096C
	v_mfma_i32_16x16x32_i8 v[136:139], a[110:111], a[6:7], v[136:139]// 00000000366C: D3D70088 1E220D6E
	v_mfma_i32_16x16x32_i8 v[104:107], a[80:81], a[8:9], v[104:107]// 000000003674: D3D70068 1DA21150
	v_mfma_i32_16x16x32_i8 v[104:107], a[82:83], a[10:11], v[104:107]// 00000000367C: D3D70068 1DA21552
	buffer_load_dwordx4 a[64:67], v50, s[84:87], 0 offen       // 000000003684: E05C1000 80954032
	v_mfma_i32_16x16x32_i8 v[104:107], a[84:85], a[12:13], v[104:107]// 00000000368C: D3D70068 1DA21954
	v_mfma_i32_16x16x32_i8 v[104:107], a[86:87], a[14:15], v[104:107]// 000000003694: D3D70068 1DA21D56
	v_mfma_i32_16x16x32_i8 v[116:119], a[88:89], a[8:9], v[116:119]// 00000000369C: D3D70074 1DD21158
	v_mfma_i32_16x16x32_i8 v[116:119], a[90:91], a[10:11], v[116:119]// 0000000036A4: D3D70074 1DD2155A
	buffer_load_dwordx4 a[68:71], v50, s[84:87], 0 offen offset:1024// 0000000036AC: E05C1400 80954432
	v_mfma_i32_16x16x32_i8 v[116:119], a[92:93], a[12:13], v[116:119]// 0000000036B4: D3D70074 1DD2195C
	v_mfma_i32_16x16x32_i8 v[116:119], a[94:95], a[14:15], v[116:119]// 0000000036BC: D3D70074 1DD21D5E
	v_mfma_i32_16x16x32_i8 v[128:131], a[96:97], a[8:9], v[128:131]// 0000000036C4: D3D70080 1E021160
	v_mfma_i32_16x16x32_i8 v[128:131], a[98:99], a[10:11], v[128:131]// 0000000036CC: D3D70080 1E021562
	buffer_load_dwordx4 a[72:75], v51, s[84:87], 0 offen       // 0000000036D4: E05C1000 80954833
	v_mfma_i32_16x16x32_i8 v[128:131], a[100:101], a[12:13], v[128:131]// 0000000036DC: D3D70080 1E021964
	v_mfma_i32_16x16x32_i8 v[128:131], a[102:103], a[14:15], v[128:131]// 0000000036E4: D3D70080 1E021D66
	v_mfma_i32_16x16x32_i8 v[140:143], a[104:105], a[8:9], v[140:143]// 0000000036EC: D3D7008C 1E321168
	v_mfma_i32_16x16x32_i8 v[140:143], a[106:107], a[10:11], v[140:143]// 0000000036F4: D3D7008C 1E32156A
	buffer_load_dwordx4 a[76:79], v51, s[84:87], 0 offen offset:1024// 0000000036FC: E05C1400 80954C33
	v_mfma_i32_16x16x32_i8 v[140:143], a[108:109], a[12:13], v[140:143]// 000000003704: D3D7008C 1E32196C
	v_mfma_i32_16x16x32_i8 v[140:143], a[110:111], a[14:15], v[140:143]// 00000000370C: D3D7008C 1E321D6E
	v_mfma_i32_16x16x32_i8 v[108:111], a[80:81], a[16:17], v[108:111]// 000000003714: D3D7006C 1DB22150
	v_mfma_i32_16x16x32_i8 v[108:111], a[82:83], a[18:19], v[108:111]// 00000000371C: D3D7006C 1DB22552
	v_mfma_i32_16x16x32_i8 v[108:111], a[84:85], a[20:21], v[108:111]// 000000003724: D3D7006C 1DB22954
	v_mfma_i32_16x16x32_i8 v[108:111], a[86:87], a[22:23], v[108:111]// 00000000372C: D3D7006C 1DB22D56
	v_mfma_i32_16x16x32_i8 v[120:123], a[88:89], a[16:17], v[120:123]// 000000003734: D3D70078 1DE22158
	v_mfma_i32_16x16x32_i8 v[120:123], a[90:91], a[18:19], v[120:123]// 00000000373C: D3D70078 1DE2255A
	v_mfma_i32_16x16x32_i8 v[120:123], a[92:93], a[20:21], v[120:123]// 000000003744: D3D70078 1DE2295C
	v_mfma_i32_16x16x32_i8 v[120:123], a[94:95], a[22:23], v[120:123]// 00000000374C: D3D70078 1DE22D5E
	v_mfma_i32_16x16x32_i8 v[132:135], a[96:97], a[16:17], v[132:135]// 000000003754: D3D70084 1E122160
	s_add_u32 s60, 0x180, s80                                  // 00000000375C: 803C50FF 00000180
	s_cmp_lt_u32 s60, s81                                      // 000000003764: BF0A513C
	s_cselect_b32 s57, s57, 0                                  // 000000003768: 85398039
	v_mfma_i32_16x16x32_i8 v[132:135], a[98:99], a[18:19], v[132:135]// 00000000376C: D3D70084 1E122562
	s_add_u32 s60, 0x100, s80                                  // 000000003774: 803C50FF 00000100
	s_cmp_lt_u32 s60, s81                                      // 00000000377C: BF0A513C
	s_cselect_b32 s58, s58, 0                                  // 000000003780: 853A803A
	v_mfma_i32_16x16x32_i8 v[132:135], a[100:101], a[20:21], v[132:135]// 000000003784: D3D70084 1E122964
	s_add_u32 s60, 0x100, s80                                  // 00000000378C: 803C50FF 00000100
	s_cmp_lt_u32 s60, s81                                      // 000000003794: BF0A513C
	s_cselect_b32 s83, s83, 0                                  // 000000003798: 85538053
	v_mfma_i32_16x16x32_i8 v[132:135], a[102:103], a[22:23], v[132:135]// 00000000379C: D3D70084 1E122D66
	s_add_u32 s24, s58, s24                                    // 0000000037A4: 8018183A
	s_addc_u32 s25, 0, s25                                     // 0000000037A8: 82191980
	v_mfma_i32_16x16x32_i8 v[144:147], a[104:105], a[16:17], v[144:147]// 0000000037AC: D3D70090 1E422168
	s_add_u32 s20, s57, s20                                    // 0000000037B4: 80141439
	s_addc_u32 s21, 0, s21                                     // 0000000037B8: 82151580
	v_mfma_i32_16x16x32_i8 v[144:147], a[106:107], a[18:19], v[144:147]// 0000000037BC: D3D70090 1E42256A
	s_add_u32 s84, s83, s84                                    // 0000000037C4: 80545453
	s_addc_u32 s85, 0, s85                                     // 0000000037C8: 82555580
	v_mfma_i32_16x16x32_i8 v[144:147], a[108:109], a[20:21], v[144:147]// 0000000037CC: D3D70090 1E42296C
	v_mfma_i32_16x16x32_i8 v[144:147], a[110:111], a[22:23], v[144:147]// 0000000037D4: D3D70090 1E422D6E
	s_addk_i32 s80, 0x80                                       // 0000000037DC: B7500080
	s_cmp_lt_i32 s80, s81                                      // 0000000037E0: BF045150
	s_cbranch_scc0 label_0902                                  // 0000000037E4: BF840588
	s_waitcnt vmcnt(14) lgkmcnt(0)                             // 0000000037E8: BF8C007E
	v_mfma_i32_16x16x32_i8 v[52:55], a[112:113], a[24:25], v[52:55]// 0000000037EC: D3D70034 1CD23170
	v_mfma_i32_16x16x32_i8 v[52:55], a[114:115], a[26:27], v[52:55]// 0000000037F4: D3D70034 1CD23572
	buffer_load_dwordx4 a[80:83], v48, s[24:27], 0 offen       // 0000000037FC: E05C1000 80865030
	v_mfma_i32_16x16x32_i8 v[52:55], a[116:117], a[28:29], v[52:55]// 000000003804: D3D70034 1CD23974
	v_mfma_i32_16x16x32_i8 v[52:55], a[118:119], a[30:31], v[52:55]// 00000000380C: D3D70034 1CD23D76
	v_mfma_i32_16x16x32_i8 v[64:67], a[120:121], a[24:25], v[64:67]// 000000003814: D3D70040 1D023178
	v_mfma_i32_16x16x32_i8 v[64:67], a[122:123], a[26:27], v[64:67]// 00000000381C: D3D70040 1D02357A
	buffer_load_dwordx4 a[84:87], v48, s[24:27], 0 offen offset:1024// 000000003824: E05C1400 80865430
	v_mfma_i32_16x16x32_i8 v[64:67], a[124:125], a[28:29], v[64:67]// 00000000382C: D3D70040 1D02397C
	v_mfma_i32_16x16x32_i8 v[64:67], a[126:127], a[30:31], v[64:67]// 000000003834: D3D70040 1D023D7E
	v_mfma_i32_16x16x32_i8 v[76:79], a[128:129], a[24:25], v[76:79]// 00000000383C: D3D7004C 1D323180
	v_mfma_i32_16x16x32_i8 v[76:79], a[130:131], a[26:27], v[76:79]// 000000003844: D3D7004C 1D323582
	buffer_load_dwordx4 a[88:91], v49, s[24:27], 0 offen       // 00000000384C: E05C1000 80865831
	v_mfma_i32_16x16x32_i8 v[76:79], a[132:133], a[28:29], v[76:79]// 000000003854: D3D7004C 1D323984
	v_mfma_i32_16x16x32_i8 v[76:79], a[134:135], a[30:31], v[76:79]// 00000000385C: D3D7004C 1D323D86
	v_mfma_i32_16x16x32_i8 v[88:91], a[136:137], a[24:25], v[88:91]// 000000003864: D3D70058 1D623188
	v_mfma_i32_16x16x32_i8 v[88:91], a[138:139], a[26:27], v[88:91]// 00000000386C: D3D70058 1D62358A
	buffer_load_dwordx4 a[92:95], v49, s[24:27], 0 offen offset:1024// 000000003874: E05C1400 80865C31
	v_mfma_i32_16x16x32_i8 v[88:91], a[140:141], a[28:29], v[88:91]// 00000000387C: D3D70058 1D62398C
	v_mfma_i32_16x16x32_i8 v[88:91], a[142:143], a[30:31], v[88:91]// 000000003884: D3D70058 1D623D8E
	v_mfma_i32_16x16x32_i8 v[56:59], a[112:113], a[32:33], v[56:59]// 00000000388C: D3D70038 1CE24170
	v_mfma_i32_16x16x32_i8 v[56:59], a[114:115], a[34:35], v[56:59]// 000000003894: D3D70038 1CE24572
	buffer_load_dwordx4 a[96:99], v50, s[24:27], 0 offen       // 00000000389C: E05C1000 80866032
	v_mfma_i32_16x16x32_i8 v[56:59], a[116:117], a[36:37], v[56:59]// 0000000038A4: D3D70038 1CE24974
	v_mfma_i32_16x16x32_i8 v[56:59], a[118:119], a[38:39], v[56:59]// 0000000038AC: D3D70038 1CE24D76
	v_mfma_i32_16x16x32_i8 v[68:71], a[120:121], a[32:33], v[68:71]// 0000000038B4: D3D70044 1D124178
	v_mfma_i32_16x16x32_i8 v[68:71], a[122:123], a[34:35], v[68:71]// 0000000038BC: D3D70044 1D12457A
	buffer_load_dwordx4 a[100:103], v50, s[24:27], 0 offen offset:1024// 0000000038C4: E05C1400 80866432
	v_mfma_i32_16x16x32_i8 v[68:71], a[124:125], a[36:37], v[68:71]// 0000000038CC: D3D70044 1D12497C
	v_mfma_i32_16x16x32_i8 v[68:71], a[126:127], a[38:39], v[68:71]// 0000000038D4: D3D70044 1D124D7E
	v_mfma_i32_16x16x32_i8 v[80:83], a[128:129], a[32:33], v[80:83]// 0000000038DC: D3D70050 1D424180
	v_mfma_i32_16x16x32_i8 v[80:83], a[130:131], a[34:35], v[80:83]// 0000000038E4: D3D70050 1D424582
	buffer_load_dwordx4 a[104:107], v51, s[24:27], 0 offen     // 0000000038EC: E05C1000 80866833
	v_mfma_i32_16x16x32_i8 v[80:83], a[132:133], a[36:37], v[80:83]// 0000000038F4: D3D70050 1D424984
	v_mfma_i32_16x16x32_i8 v[80:83], a[134:135], a[38:39], v[80:83]// 0000000038FC: D3D70050 1D424D86
	v_mfma_i32_16x16x32_i8 v[92:95], a[136:137], a[32:33], v[92:95]// 000000003904: D3D7005C 1D724188
	v_mfma_i32_16x16x32_i8 v[92:95], a[138:139], a[34:35], v[92:95]// 00000000390C: D3D7005C 1D72458A
	buffer_load_dwordx4 a[108:111], v51, s[24:27], 0 offen offset:1024// 000000003914: E05C1400 80866C33
	buffer_load_dword v42, s[20:23], 0 offen lds               // 00000000391C: E0511000 8005002A
	s_add_u32 m0, 0x100, s48                                   // 000000003924: 807C30FF 00000100
	v_mfma_i32_16x16x32_i8 v[92:95], a[140:141], a[36:37], v[92:95]// 00000000392C: D3D7005C 1D72498C
	v_mfma_i32_16x16x32_i8 v[92:95], a[142:143], a[38:39], v[92:95]// 000000003934: D3D7005C 1D724D8E
	buffer_load_dword v43, s[20:23], 0 offen lds               // 00000000393C: E0511000 8005002B
	s_add_u32 m0, 0x200, s48                                   // 000000003944: 807C30FF 00000200
	v_mfma_i32_16x16x32_i8 v[60:63], a[112:113], a[40:41], v[60:63]// 00000000394C: D3D7003C 1CF25170
	v_mfma_i32_16x16x32_i8 v[60:63], a[114:115], a[42:43], v[60:63]// 000000003954: D3D7003C 1CF25572
	buffer_load_dword v44, s[20:23], 0 offen lds               // 00000000395C: E0511000 8005002C
	s_add_u32 m0, 0x300, s48                                   // 000000003964: 807C30FF 00000300
	v_mfma_i32_16x16x32_i8 v[60:63], a[116:117], a[44:45], v[60:63]// 00000000396C: D3D7003C 1CF25974
	v_mfma_i32_16x16x32_i8 v[60:63], a[118:119], a[46:47], v[60:63]// 000000003974: D3D7003C 1CF25D76
	buffer_load_dword v45, s[20:23], 0 offen lds               // 00000000397C: E0511000 8005002D
	s_add_u32 m0, 0x400, s48                                   // 000000003984: 807C30FF 00000400
	v_mfma_i32_16x16x32_i8 v[72:75], a[120:121], a[40:41], v[72:75]// 00000000398C: D3D70048 1D225178
	v_mfma_i32_16x16x32_i8 v[72:75], a[122:123], a[42:43], v[72:75]// 000000003994: D3D70048 1D22557A
	buffer_load_dword v46, s[20:23], 0 offen lds               // 00000000399C: E0511000 8005002E
	s_add_u32 m0, 0x500, s48                                   // 0000000039A4: 807C30FF 00000500
	v_mfma_i32_16x16x32_i8 v[72:75], a[124:125], a[44:45], v[72:75]// 0000000039AC: D3D70048 1D22597C
	v_mfma_i32_16x16x32_i8 v[72:75], a[126:127], a[46:47], v[72:75]// 0000000039B4: D3D70048 1D225D7E
	buffer_load_dword v47, s[20:23], 0 offen lds               // 0000000039BC: E0511000 8005002F
	s_add_u32 m0, 0, s49                                       // 0000000039C4: 807C3180
	v_mfma_i32_16x16x32_i8 v[84:87], a[128:129], a[40:41], v[84:87]// 0000000039C8: D3D70054 1D525180
	v_mfma_i32_16x16x32_i8 v[84:87], a[130:131], a[42:43], v[84:87]// 0000000039D0: D3D70054 1D525582
	v_mfma_i32_16x16x32_i8 v[84:87], a[132:133], a[44:45], v[84:87]// 0000000039D8: D3D70054 1D525984
	v_mfma_i32_16x16x32_i8 v[84:87], a[134:135], a[46:47], v[84:87]// 0000000039E0: D3D70054 1D525D86
	v_mfma_i32_16x16x32_i8 v[96:99], a[136:137], a[40:41], v[96:99]// 0000000039E8: D3D70060 1D825188
	v_mfma_i32_16x16x32_i8 v[96:99], a[138:139], a[42:43], v[96:99]// 0000000039F0: D3D70060 1D82558A
	v_mfma_i32_16x16x32_i8 v[96:99], a[140:141], a[44:45], v[96:99]// 0000000039F8: D3D70060 1D82598C
	v_mfma_i32_16x16x32_i8 v[96:99], a[142:143], a[46:47], v[96:99]// 000000003A00: D3D70060 1D825D8E
	s_waitcnt vmcnt(14)                                        // 000000003A08: BF8C0F7E
	s_barrier                                                  // 000000003A0C: BF8A0000
	v_mfma_i32_16x16x32_i8 v[100:103], a[48:49], a[24:25], v[100:103]// 000000003A10: D3D70064 1D923130
	v_mfma_i32_16x16x32_i8 v[100:103], a[50:51], a[26:27], v[100:103]// 000000003A18: D3D70064 1D923532
	buffer_load_dwordx4 a[112:115], v48, s[84:87], 0 offen     // 000000003A20: E05C1000 80957030
	v_mfma_i32_16x16x32_i8 v[100:103], a[52:53], a[28:29], v[100:103]// 000000003A28: D3D70064 1D923934
	v_mfma_i32_16x16x32_i8 v[100:103], a[54:55], a[30:31], v[100:103]// 000000003A30: D3D70064 1D923D36
	ds_read_b128 a[0:3], v2 offset:12544                       // 000000003A38: DBFE3100 00000002
	ds_read_b128 a[4:7], v2 offset:12608                       // 000000003A40: DBFE3140 04000002
	v_mfma_i32_16x16x32_i8 v[112:115], a[56:57], a[24:25], v[112:115]// 000000003A48: D3D70070 1DC23138
	v_mfma_i32_16x16x32_i8 v[112:115], a[58:59], a[26:27], v[112:115]// 000000003A50: D3D70070 1DC2353A
	buffer_load_dwordx4 a[116:119], v48, s[84:87], 0 offen offset:1024// 000000003A58: E05C1400 80957430
	v_mfma_i32_16x16x32_i8 v[112:115], a[60:61], a[28:29], v[112:115]// 000000003A60: D3D70070 1DC2393C
	v_mfma_i32_16x16x32_i8 v[112:115], a[62:63], a[30:31], v[112:115]// 000000003A68: D3D70070 1DC23D3E
	ds_read_b128 a[8:11], v2 offset:13056                      // 000000003A70: DBFE3300 08000002
	ds_read_b128 a[12:15], v2 offset:13120                     // 000000003A78: DBFE3340 0C000002
	v_mfma_i32_16x16x32_i8 v[124:127], a[64:65], a[24:25], v[124:127]// 000000003A80: D3D7007C 1DF23140
	v_mfma_i32_16x16x32_i8 v[124:127], a[66:67], a[26:27], v[124:127]// 000000003A88: D3D7007C 1DF23542
	buffer_load_dwordx4 a[120:123], v49, s[84:87], 0 offen     // 000000003A90: E05C1000 80957831
	v_mfma_i32_16x16x32_i8 v[124:127], a[68:69], a[28:29], v[124:127]// 000000003A98: D3D7007C 1DF23944
	v_mfma_i32_16x16x32_i8 v[124:127], a[70:71], a[30:31], v[124:127]// 000000003AA0: D3D7007C 1DF23D46
	ds_read_b128 a[16:19], v2 offset:13568                     // 000000003AA8: DBFE3500 10000002
	ds_read_b128 a[20:23], v2 offset:13632                     // 000000003AB0: DBFE3540 14000002
	v_mfma_i32_16x16x32_i8 v[136:139], a[72:73], a[24:25], v[136:139]// 000000003AB8: D3D70088 1E223148
	v_mfma_i32_16x16x32_i8 v[136:139], a[74:75], a[26:27], v[136:139]// 000000003AC0: D3D70088 1E22354A
	buffer_load_dwordx4 a[124:127], v49, s[84:87], 0 offen offset:1024// 000000003AC8: E05C1400 80957C31
	v_mfma_i32_16x16x32_i8 v[136:139], a[76:77], a[28:29], v[136:139]// 000000003AD0: D3D70088 1E22394C
	v_mfma_i32_16x16x32_i8 v[136:139], a[78:79], a[30:31], v[136:139]// 000000003AD8: D3D70088 1E223D4E
	v_mfma_i32_16x16x32_i8 v[104:107], a[48:49], a[32:33], v[104:107]// 000000003AE0: D3D70068 1DA24130
	v_mfma_i32_16x16x32_i8 v[104:107], a[50:51], a[34:35], v[104:107]// 000000003AE8: D3D70068 1DA24532
	buffer_load_dwordx4 a[128:131], v50, s[84:87], 0 offen     // 000000003AF0: E05C1000 80958032
	v_mfma_i32_16x16x32_i8 v[104:107], a[52:53], a[36:37], v[104:107]// 000000003AF8: D3D70068 1DA24934
	v_mfma_i32_16x16x32_i8 v[104:107], a[54:55], a[38:39], v[104:107]// 000000003B00: D3D70068 1DA24D36
	v_mfma_i32_16x16x32_i8 v[116:119], a[56:57], a[32:33], v[116:119]// 000000003B08: D3D70074 1DD24138
	v_mfma_i32_16x16x32_i8 v[116:119], a[58:59], a[34:35], v[116:119]// 000000003B10: D3D70074 1DD2453A
	buffer_load_dwordx4 a[132:135], v50, s[84:87], 0 offen offset:1024// 000000003B18: E05C1400 80958432
	v_mfma_i32_16x16x32_i8 v[116:119], a[60:61], a[36:37], v[116:119]// 000000003B20: D3D70074 1DD2493C
	v_mfma_i32_16x16x32_i8 v[116:119], a[62:63], a[38:39], v[116:119]// 000000003B28: D3D70074 1DD24D3E
	v_mfma_i32_16x16x32_i8 v[128:131], a[64:65], a[32:33], v[128:131]// 000000003B30: D3D70080 1E024140
	v_mfma_i32_16x16x32_i8 v[128:131], a[66:67], a[34:35], v[128:131]// 000000003B38: D3D70080 1E024542
	buffer_load_dwordx4 a[136:139], v51, s[84:87], 0 offen     // 000000003B40: E05C1000 80958833
	v_mfma_i32_16x16x32_i8 v[128:131], a[68:69], a[36:37], v[128:131]// 000000003B48: D3D70080 1E024944
	v_mfma_i32_16x16x32_i8 v[128:131], a[70:71], a[38:39], v[128:131]// 000000003B50: D3D70080 1E024D46
	v_mfma_i32_16x16x32_i8 v[140:143], a[72:73], a[32:33], v[140:143]// 000000003B58: D3D7008C 1E324148
	v_mfma_i32_16x16x32_i8 v[140:143], a[74:75], a[34:35], v[140:143]// 000000003B60: D3D7008C 1E32454A
	buffer_load_dwordx4 a[140:143], v51, s[84:87], 0 offen offset:1024// 000000003B68: E05C1400 80958C33
	v_mfma_i32_16x16x32_i8 v[140:143], a[76:77], a[36:37], v[140:143]// 000000003B70: D3D7008C 1E32494C
	v_mfma_i32_16x16x32_i8 v[140:143], a[78:79], a[38:39], v[140:143]// 000000003B78: D3D7008C 1E324D4E
	v_mfma_i32_16x16x32_i8 v[108:111], a[48:49], a[40:41], v[108:111]// 000000003B80: D3D7006C 1DB25130
	v_mfma_i32_16x16x32_i8 v[108:111], a[50:51], a[42:43], v[108:111]// 000000003B88: D3D7006C 1DB25532
	v_mfma_i32_16x16x32_i8 v[108:111], a[52:53], a[44:45], v[108:111]// 000000003B90: D3D7006C 1DB25934
	v_mfma_i32_16x16x32_i8 v[108:111], a[54:55], a[46:47], v[108:111]// 000000003B98: D3D7006C 1DB25D36
	v_mfma_i32_16x16x32_i8 v[120:123], a[56:57], a[40:41], v[120:123]// 000000003BA0: D3D70078 1DE25138
	v_mfma_i32_16x16x32_i8 v[120:123], a[58:59], a[42:43], v[120:123]// 000000003BA8: D3D70078 1DE2553A
	v_mfma_i32_16x16x32_i8 v[120:123], a[60:61], a[44:45], v[120:123]// 000000003BB0: D3D70078 1DE2593C
	v_mfma_i32_16x16x32_i8 v[120:123], a[62:63], a[46:47], v[120:123]// 000000003BB8: D3D70078 1DE25D3E
	v_mfma_i32_16x16x32_i8 v[132:135], a[64:65], a[40:41], v[132:135]// 000000003BC0: D3D70084 1E125140
	s_add_u32 s60, 0x180, s80                                  // 000000003BC8: 803C50FF 00000180
	s_cmp_lt_u32 s60, s81                                      // 000000003BD0: BF0A513C
	s_cselect_b32 s57, s57, 0                                  // 000000003BD4: 85398039
	v_mfma_i32_16x16x32_i8 v[132:135], a[66:67], a[42:43], v[132:135]// 000000003BD8: D3D70084 1E125542
	s_add_u32 s60, 0x100, s80                                  // 000000003BE0: 803C50FF 00000100
	s_cmp_lt_u32 s60, s81                                      // 000000003BE8: BF0A513C
	s_cselect_b32 s58, s58, 0                                  // 000000003BEC: 853A803A
	v_mfma_i32_16x16x32_i8 v[132:135], a[68:69], a[44:45], v[132:135]// 000000003BF0: D3D70084 1E125944
	s_add_u32 s60, 0x100, s80                                  // 000000003BF8: 803C50FF 00000100
	s_cmp_lt_u32 s60, s81                                      // 000000003C00: BF0A513C
	s_cselect_b32 s83, s83, 0                                  // 000000003C04: 85538053
	v_mfma_i32_16x16x32_i8 v[132:135], a[70:71], a[46:47], v[132:135]// 000000003C08: D3D70084 1E125D46
	s_add_u32 s24, s58, s24                                    // 000000003C10: 8018183A
	s_addc_u32 s25, 0, s25                                     // 000000003C14: 82191980
	v_mfma_i32_16x16x32_i8 v[144:147], a[72:73], a[40:41], v[144:147]// 000000003C18: D3D70090 1E425148
	s_add_u32 s20, s57, s20                                    // 000000003C20: 80141439
	s_addc_u32 s21, 0, s21                                     // 000000003C24: 82151580
	v_mfma_i32_16x16x32_i8 v[144:147], a[74:75], a[42:43], v[144:147]// 000000003C28: D3D70090 1E42554A
	s_add_u32 s84, s83, s84                                    // 000000003C30: 80545453
	s_addc_u32 s85, 0, s85                                     // 000000003C34: 82555580
	v_mfma_i32_16x16x32_i8 v[144:147], a[76:77], a[44:45], v[144:147]// 000000003C38: D3D70090 1E42594C
	v_mfma_i32_16x16x32_i8 v[144:147], a[78:79], a[46:47], v[144:147]// 000000003C40: D3D70090 1E425D4E
	s_addk_i32 s80, 0x80                                       // 000000003C48: B7500080
	s_cmp_lt_i32 s80, s81                                      // 000000003C4C: BF045150
	s_cbranch_scc0 label_0902                                  // 000000003C50: BF84046D
	s_waitcnt vmcnt(14) lgkmcnt(0)                             // 000000003C54: BF8C007E
	v_mfma_i32_16x16x32_i8 v[52:55], a[80:81], a[0:1], v[52:55]// 000000003C58: D3D70034 1CD20150
	v_mfma_i32_16x16x32_i8 v[52:55], a[82:83], a[2:3], v[52:55]// 000000003C60: D3D70034 1CD20552
	buffer_load_dwordx4 a[48:51], v48, s[24:27], 0 offen       // 000000003C68: E05C1000 80863030
	v_mfma_i32_16x16x32_i8 v[52:55], a[84:85], a[4:5], v[52:55]// 000000003C70: D3D70034 1CD20954
	v_mfma_i32_16x16x32_i8 v[52:55], a[86:87], a[6:7], v[52:55]// 000000003C78: D3D70034 1CD20D56
	v_mfma_i32_16x16x32_i8 v[64:67], a[88:89], a[0:1], v[64:67]// 000000003C80: D3D70040 1D020158
	v_mfma_i32_16x16x32_i8 v[64:67], a[90:91], a[2:3], v[64:67]// 000000003C88: D3D70040 1D02055A
	buffer_load_dwordx4 a[52:55], v48, s[24:27], 0 offen offset:1024// 000000003C90: E05C1400 80863430
	v_mfma_i32_16x16x32_i8 v[64:67], a[92:93], a[4:5], v[64:67]// 000000003C98: D3D70040 1D02095C
	v_mfma_i32_16x16x32_i8 v[64:67], a[94:95], a[6:7], v[64:67]// 000000003CA0: D3D70040 1D020D5E
	v_mfma_i32_16x16x32_i8 v[76:79], a[96:97], a[0:1], v[76:79]// 000000003CA8: D3D7004C 1D320160
	v_mfma_i32_16x16x32_i8 v[76:79], a[98:99], a[2:3], v[76:79]// 000000003CB0: D3D7004C 1D320562
	buffer_load_dwordx4 a[56:59], v49, s[24:27], 0 offen       // 000000003CB8: E05C1000 80863831
	v_mfma_i32_16x16x32_i8 v[76:79], a[100:101], a[4:5], v[76:79]// 000000003CC0: D3D7004C 1D320964
	v_mfma_i32_16x16x32_i8 v[76:79], a[102:103], a[6:7], v[76:79]// 000000003CC8: D3D7004C 1D320D66
	v_mfma_i32_16x16x32_i8 v[88:91], a[104:105], a[0:1], v[88:91]// 000000003CD0: D3D70058 1D620168
	v_mfma_i32_16x16x32_i8 v[88:91], a[106:107], a[2:3], v[88:91]// 000000003CD8: D3D70058 1D62056A
	buffer_load_dwordx4 a[60:63], v49, s[24:27], 0 offen offset:1024// 000000003CE0: E05C1400 80863C31
	v_mfma_i32_16x16x32_i8 v[88:91], a[108:109], a[4:5], v[88:91]// 000000003CE8: D3D70058 1D62096C
	v_mfma_i32_16x16x32_i8 v[88:91], a[110:111], a[6:7], v[88:91]// 000000003CF0: D3D70058 1D620D6E
	v_mfma_i32_16x16x32_i8 v[56:59], a[80:81], a[8:9], v[56:59]// 000000003CF8: D3D70038 1CE21150
	v_mfma_i32_16x16x32_i8 v[56:59], a[82:83], a[10:11], v[56:59]// 000000003D00: D3D70038 1CE21552
	buffer_load_dwordx4 a[64:67], v50, s[24:27], 0 offen       // 000000003D08: E05C1000 80864032
	v_mfma_i32_16x16x32_i8 v[56:59], a[84:85], a[12:13], v[56:59]// 000000003D10: D3D70038 1CE21954
	v_mfma_i32_16x16x32_i8 v[56:59], a[86:87], a[14:15], v[56:59]// 000000003D18: D3D70038 1CE21D56
	v_mfma_i32_16x16x32_i8 v[68:71], a[88:89], a[8:9], v[68:71]// 000000003D20: D3D70044 1D121158
	v_mfma_i32_16x16x32_i8 v[68:71], a[90:91], a[10:11], v[68:71]// 000000003D28: D3D70044 1D12155A
	buffer_load_dwordx4 a[68:71], v50, s[24:27], 0 offen offset:1024// 000000003D30: E05C1400 80864432
	v_mfma_i32_16x16x32_i8 v[68:71], a[92:93], a[12:13], v[68:71]// 000000003D38: D3D70044 1D12195C
	v_mfma_i32_16x16x32_i8 v[68:71], a[94:95], a[14:15], v[68:71]// 000000003D40: D3D70044 1D121D5E
	v_mfma_i32_16x16x32_i8 v[80:83], a[96:97], a[8:9], v[80:83]// 000000003D48: D3D70050 1D421160
	v_mfma_i32_16x16x32_i8 v[80:83], a[98:99], a[10:11], v[80:83]// 000000003D50: D3D70050 1D421562
	buffer_load_dwordx4 a[72:75], v51, s[24:27], 0 offen       // 000000003D58: E05C1000 80864833
	v_mfma_i32_16x16x32_i8 v[80:83], a[100:101], a[12:13], v[80:83]// 000000003D60: D3D70050 1D421964
	v_mfma_i32_16x16x32_i8 v[80:83], a[102:103], a[14:15], v[80:83]// 000000003D68: D3D70050 1D421D66
	v_mfma_i32_16x16x32_i8 v[92:95], a[104:105], a[8:9], v[92:95]// 000000003D70: D3D7005C 1D721168
	v_mfma_i32_16x16x32_i8 v[92:95], a[106:107], a[10:11], v[92:95]// 000000003D78: D3D7005C 1D72156A
	buffer_load_dwordx4 a[76:79], v51, s[24:27], 0 offen offset:1024// 000000003D80: E05C1400 80864C33
	buffer_load_dword v42, s[20:23], 0 offen lds               // 000000003D88: E0511000 8005002A
	s_add_u32 m0, 0x100, s49                                   // 000000003D90: 807C31FF 00000100
	v_mfma_i32_16x16x32_i8 v[92:95], a[108:109], a[12:13], v[92:95]// 000000003D98: D3D7005C 1D72196C
	v_mfma_i32_16x16x32_i8 v[92:95], a[110:111], a[14:15], v[92:95]// 000000003DA0: D3D7005C 1D721D6E
	buffer_load_dword v43, s[20:23], 0 offen lds               // 000000003DA8: E0511000 8005002B
	s_add_u32 m0, 0x200, s49                                   // 000000003DB0: 807C31FF 00000200
	v_mfma_i32_16x16x32_i8 v[60:63], a[80:81], a[16:17], v[60:63]// 000000003DB8: D3D7003C 1CF22150
	v_mfma_i32_16x16x32_i8 v[60:63], a[82:83], a[18:19], v[60:63]// 000000003DC0: D3D7003C 1CF22552
	buffer_load_dword v44, s[20:23], 0 offen lds               // 000000003DC8: E0511000 8005002C
	s_add_u32 m0, 0x300, s49                                   // 000000003DD0: 807C31FF 00000300
	v_mfma_i32_16x16x32_i8 v[60:63], a[84:85], a[20:21], v[60:63]// 000000003DD8: D3D7003C 1CF22954
	v_mfma_i32_16x16x32_i8 v[60:63], a[86:87], a[22:23], v[60:63]// 000000003DE0: D3D7003C 1CF22D56
	buffer_load_dword v45, s[20:23], 0 offen lds               // 000000003DE8: E0511000 8005002D
	s_add_u32 m0, 0x400, s49                                   // 000000003DF0: 807C31FF 00000400
	v_mfma_i32_16x16x32_i8 v[72:75], a[88:89], a[16:17], v[72:75]// 000000003DF8: D3D70048 1D222158
	v_mfma_i32_16x16x32_i8 v[72:75], a[90:91], a[18:19], v[72:75]// 000000003E00: D3D70048 1D22255A
	buffer_load_dword v46, s[20:23], 0 offen lds               // 000000003E08: E0511000 8005002E
	s_add_u32 m0, 0x500, s49                                   // 000000003E10: 807C31FF 00000500
	v_mfma_i32_16x16x32_i8 v[72:75], a[92:93], a[20:21], v[72:75]// 000000003E18: D3D70048 1D22295C
	v_mfma_i32_16x16x32_i8 v[72:75], a[94:95], a[22:23], v[72:75]// 000000003E20: D3D70048 1D222D5E
	buffer_load_dword v47, s[20:23], 0 offen lds               // 000000003E28: E0511000 8005002F
	s_add_u32 m0, 0, s50                                       // 000000003E30: 807C3280
	v_mfma_i32_16x16x32_i8 v[84:87], a[96:97], a[16:17], v[84:87]// 000000003E34: D3D70054 1D522160
	v_mfma_i32_16x16x32_i8 v[84:87], a[98:99], a[18:19], v[84:87]// 000000003E3C: D3D70054 1D522562
	v_mfma_i32_16x16x32_i8 v[84:87], a[100:101], a[20:21], v[84:87]// 000000003E44: D3D70054 1D522964
	v_mfma_i32_16x16x32_i8 v[84:87], a[102:103], a[22:23], v[84:87]// 000000003E4C: D3D70054 1D522D66
	v_mfma_i32_16x16x32_i8 v[96:99], a[104:105], a[16:17], v[96:99]// 000000003E54: D3D70060 1D822168
	v_mfma_i32_16x16x32_i8 v[96:99], a[106:107], a[18:19], v[96:99]// 000000003E5C: D3D70060 1D82256A
	v_mfma_i32_16x16x32_i8 v[96:99], a[108:109], a[20:21], v[96:99]// 000000003E64: D3D70060 1D82296C
	v_mfma_i32_16x16x32_i8 v[96:99], a[110:111], a[22:23], v[96:99]// 000000003E6C: D3D70060 1D822D6E
	s_waitcnt vmcnt(14)                                        // 000000003E74: BF8C0F7E
	s_barrier                                                  // 000000003E78: BF8A0000
	v_mfma_i32_16x16x32_i8 v[100:103], a[112:113], a[0:1], v[100:103]// 000000003E7C: D3D70064 1D920170
	v_mfma_i32_16x16x32_i8 v[100:103], a[114:115], a[2:3], v[100:103]// 000000003E84: D3D70064 1D920572
	buffer_load_dwordx4 a[80:83], v48, s[84:87], 0 offen       // 000000003E8C: E05C1000 80955030
	v_mfma_i32_16x16x32_i8 v[100:103], a[116:117], a[4:5], v[100:103]// 000000003E94: D3D70064 1D920974
	v_mfma_i32_16x16x32_i8 v[100:103], a[118:119], a[6:7], v[100:103]// 000000003E9C: D3D70064 1D920D76
	ds_read_b128 a[24:27], v2                                  // 000000003EA4: DBFE0000 18000002
	ds_read_b128 a[28:31], v2 offset:64                        // 000000003EAC: DBFE0040 1C000002
	v_mfma_i32_16x16x32_i8 v[112:115], a[120:121], a[0:1], v[112:115]// 000000003EB4: D3D70070 1DC20178
	v_mfma_i32_16x16x32_i8 v[112:115], a[122:123], a[2:3], v[112:115]// 000000003EBC: D3D70070 1DC2057A
	buffer_load_dwordx4 a[84:87], v48, s[84:87], 0 offen offset:1024// 000000003EC4: E05C1400 80955430
	v_mfma_i32_16x16x32_i8 v[112:115], a[124:125], a[4:5], v[112:115]// 000000003ECC: D3D70070 1DC2097C
	v_mfma_i32_16x16x32_i8 v[112:115], a[126:127], a[6:7], v[112:115]// 000000003ED4: D3D70070 1DC20D7E
	ds_read_b128 a[32:35], v2 offset:512                       // 000000003EDC: DBFE0200 20000002
	ds_read_b128 a[36:39], v2 offset:576                       // 000000003EE4: DBFE0240 24000002
	v_mfma_i32_16x16x32_i8 v[124:127], a[128:129], a[0:1], v[124:127]// 000000003EEC: D3D7007C 1DF20180
	v_mfma_i32_16x16x32_i8 v[124:127], a[130:131], a[2:3], v[124:127]// 000000003EF4: D3D7007C 1DF20582
	buffer_load_dwordx4 a[88:91], v49, s[84:87], 0 offen       // 000000003EFC: E05C1000 80955831
	v_mfma_i32_16x16x32_i8 v[124:127], a[132:133], a[4:5], v[124:127]// 000000003F04: D3D7007C 1DF20984
	v_mfma_i32_16x16x32_i8 v[124:127], a[134:135], a[6:7], v[124:127]// 000000003F0C: D3D7007C 1DF20D86
	ds_read_b128 a[40:43], v2 offset:1024                      // 000000003F14: DBFE0400 28000002
	ds_read_b128 a[44:47], v2 offset:1088                      // 000000003F1C: DBFE0440 2C000002
	v_mfma_i32_16x16x32_i8 v[136:139], a[136:137], a[0:1], v[136:139]// 000000003F24: D3D70088 1E220188
	v_mfma_i32_16x16x32_i8 v[136:139], a[138:139], a[2:3], v[136:139]// 000000003F2C: D3D70088 1E22058A
	buffer_load_dwordx4 a[92:95], v49, s[84:87], 0 offen offset:1024// 000000003F34: E05C1400 80955C31
	v_mfma_i32_16x16x32_i8 v[136:139], a[140:141], a[4:5], v[136:139]// 000000003F3C: D3D70088 1E22098C
	v_mfma_i32_16x16x32_i8 v[136:139], a[142:143], a[6:7], v[136:139]// 000000003F44: D3D70088 1E220D8E
	v_mfma_i32_16x16x32_i8 v[104:107], a[112:113], a[8:9], v[104:107]// 000000003F4C: D3D70068 1DA21170
	v_mfma_i32_16x16x32_i8 v[104:107], a[114:115], a[10:11], v[104:107]// 000000003F54: D3D70068 1DA21572
	buffer_load_dwordx4 a[96:99], v50, s[84:87], 0 offen       // 000000003F5C: E05C1000 80956032
	v_mfma_i32_16x16x32_i8 v[104:107], a[116:117], a[12:13], v[104:107]// 000000003F64: D3D70068 1DA21974
	v_mfma_i32_16x16x32_i8 v[104:107], a[118:119], a[14:15], v[104:107]// 000000003F6C: D3D70068 1DA21D76
	v_mfma_i32_16x16x32_i8 v[116:119], a[120:121], a[8:9], v[116:119]// 000000003F74: D3D70074 1DD21178
	v_mfma_i32_16x16x32_i8 v[116:119], a[122:123], a[10:11], v[116:119]// 000000003F7C: D3D70074 1DD2157A
	buffer_load_dwordx4 a[100:103], v50, s[84:87], 0 offen offset:1024// 000000003F84: E05C1400 80956432
	v_mfma_i32_16x16x32_i8 v[116:119], a[124:125], a[12:13], v[116:119]// 000000003F8C: D3D70074 1DD2197C
	v_mfma_i32_16x16x32_i8 v[116:119], a[126:127], a[14:15], v[116:119]// 000000003F94: D3D70074 1DD21D7E
	v_mfma_i32_16x16x32_i8 v[128:131], a[128:129], a[8:9], v[128:131]// 000000003F9C: D3D70080 1E021180
	v_mfma_i32_16x16x32_i8 v[128:131], a[130:131], a[10:11], v[128:131]// 000000003FA4: D3D70080 1E021582
	buffer_load_dwordx4 a[104:107], v51, s[84:87], 0 offen     // 000000003FAC: E05C1000 80956833
	v_mfma_i32_16x16x32_i8 v[128:131], a[132:133], a[12:13], v[128:131]// 000000003FB4: D3D70080 1E021984
	v_mfma_i32_16x16x32_i8 v[128:131], a[134:135], a[14:15], v[128:131]// 000000003FBC: D3D70080 1E021D86
	v_mfma_i32_16x16x32_i8 v[140:143], a[136:137], a[8:9], v[140:143]// 000000003FC4: D3D7008C 1E321188
	v_mfma_i32_16x16x32_i8 v[140:143], a[138:139], a[10:11], v[140:143]// 000000003FCC: D3D7008C 1E32158A
	buffer_load_dwordx4 a[108:111], v51, s[84:87], 0 offen offset:1024// 000000003FD4: E05C1400 80956C33
	v_mfma_i32_16x16x32_i8 v[140:143], a[140:141], a[12:13], v[140:143]// 000000003FDC: D3D7008C 1E32198C
	v_mfma_i32_16x16x32_i8 v[140:143], a[142:143], a[14:15], v[140:143]// 000000003FE4: D3D7008C 1E321D8E
	v_mfma_i32_16x16x32_i8 v[108:111], a[112:113], a[16:17], v[108:111]// 000000003FEC: D3D7006C 1DB22170
	v_mfma_i32_16x16x32_i8 v[108:111], a[114:115], a[18:19], v[108:111]// 000000003FF4: D3D7006C 1DB22572
	v_mfma_i32_16x16x32_i8 v[108:111], a[116:117], a[20:21], v[108:111]// 000000003FFC: D3D7006C 1DB22974
	v_mfma_i32_16x16x32_i8 v[108:111], a[118:119], a[22:23], v[108:111]// 000000004004: D3D7006C 1DB22D76
	v_mfma_i32_16x16x32_i8 v[120:123], a[120:121], a[16:17], v[120:123]// 00000000400C: D3D70078 1DE22178
	v_mfma_i32_16x16x32_i8 v[120:123], a[122:123], a[18:19], v[120:123]// 000000004014: D3D70078 1DE2257A
	v_mfma_i32_16x16x32_i8 v[120:123], a[124:125], a[20:21], v[120:123]// 00000000401C: D3D70078 1DE2297C
	v_mfma_i32_16x16x32_i8 v[120:123], a[126:127], a[22:23], v[120:123]// 000000004024: D3D70078 1DE22D7E
	v_mfma_i32_16x16x32_i8 v[132:135], a[128:129], a[16:17], v[132:135]// 00000000402C: D3D70084 1E122180
	s_add_u32 s60, 0x180, s80                                  // 000000004034: 803C50FF 00000180
	s_cmp_lt_u32 s60, s81                                      // 00000000403C: BF0A513C
	s_cselect_b32 s57, s57, 0                                  // 000000004040: 85398039
	v_mfma_i32_16x16x32_i8 v[132:135], a[130:131], a[18:19], v[132:135]// 000000004044: D3D70084 1E122582
	s_add_u32 s60, 0x100, s80                                  // 00000000404C: 803C50FF 00000100
	s_cmp_lt_u32 s60, s81                                      // 000000004054: BF0A513C
	s_cselect_b32 s58, s58, 0                                  // 000000004058: 853A803A
	v_mfma_i32_16x16x32_i8 v[132:135], a[132:133], a[20:21], v[132:135]// 00000000405C: D3D70084 1E122984
	s_add_u32 s60, 0x100, s80                                  // 000000004064: 803C50FF 00000100
	s_cmp_lt_u32 s60, s81                                      // 00000000406C: BF0A513C
	s_cselect_b32 s83, s83, 0                                  // 000000004070: 85538053
	v_mfma_i32_16x16x32_i8 v[132:135], a[134:135], a[22:23], v[132:135]// 000000004074: D3D70084 1E122D86
	s_add_u32 s24, s58, s24                                    // 00000000407C: 8018183A
	s_addc_u32 s25, 0, s25                                     // 000000004080: 82191980
	v_mfma_i32_16x16x32_i8 v[144:147], a[136:137], a[16:17], v[144:147]// 000000004084: D3D70090 1E422188
	s_add_u32 s20, s57, s20                                    // 00000000408C: 80141439
	s_addc_u32 s21, 0, s21                                     // 000000004090: 82151580
	v_mfma_i32_16x16x32_i8 v[144:147], a[138:139], a[18:19], v[144:147]// 000000004094: D3D70090 1E42258A
	s_add_u32 s84, s83, s84                                    // 00000000409C: 80545453
	s_addc_u32 s85, 0, s85                                     // 0000000040A0: 82555580
	v_mfma_i32_16x16x32_i8 v[144:147], a[140:141], a[20:21], v[144:147]// 0000000040A4: D3D70090 1E42298C
	v_mfma_i32_16x16x32_i8 v[144:147], a[142:143], a[22:23], v[144:147]// 0000000040AC: D3D70090 1E422D8E
	s_addk_i32 s80, 0x80                                       // 0000000040B4: B7500080
	s_cmp_lt_i32 s80, s81                                      // 0000000040B8: BF045150
	s_cbranch_scc0 label_0902                                  // 0000000040BC: BF840352
	s_waitcnt vmcnt(14) lgkmcnt(0)                             // 0000000040C0: BF8C007E
	v_mfma_i32_16x16x32_i8 v[52:55], a[48:49], a[24:25], v[52:55]// 0000000040C4: D3D70034 1CD23130
	v_mfma_i32_16x16x32_i8 v[52:55], a[50:51], a[26:27], v[52:55]// 0000000040CC: D3D70034 1CD23532
	buffer_load_dwordx4 a[112:115], v48, s[24:27], 0 offen     // 0000000040D4: E05C1000 80867030
	v_mfma_i32_16x16x32_i8 v[52:55], a[52:53], a[28:29], v[52:55]// 0000000040DC: D3D70034 1CD23934
	v_mfma_i32_16x16x32_i8 v[52:55], a[54:55], a[30:31], v[52:55]// 0000000040E4: D3D70034 1CD23D36
	v_mfma_i32_16x16x32_i8 v[64:67], a[56:57], a[24:25], v[64:67]// 0000000040EC: D3D70040 1D023138
	v_mfma_i32_16x16x32_i8 v[64:67], a[58:59], a[26:27], v[64:67]// 0000000040F4: D3D70040 1D02353A
	buffer_load_dwordx4 a[116:119], v48, s[24:27], 0 offen offset:1024// 0000000040FC: E05C1400 80867430
	v_mfma_i32_16x16x32_i8 v[64:67], a[60:61], a[28:29], v[64:67]// 000000004104: D3D70040 1D02393C
	v_mfma_i32_16x16x32_i8 v[64:67], a[62:63], a[30:31], v[64:67]// 00000000410C: D3D70040 1D023D3E
	v_mfma_i32_16x16x32_i8 v[76:79], a[64:65], a[24:25], v[76:79]// 000000004114: D3D7004C 1D323140
	v_mfma_i32_16x16x32_i8 v[76:79], a[66:67], a[26:27], v[76:79]// 00000000411C: D3D7004C 1D323542
	buffer_load_dwordx4 a[120:123], v49, s[24:27], 0 offen     // 000000004124: E05C1000 80867831
	v_mfma_i32_16x16x32_i8 v[76:79], a[68:69], a[28:29], v[76:79]// 00000000412C: D3D7004C 1D323944
	v_mfma_i32_16x16x32_i8 v[76:79], a[70:71], a[30:31], v[76:79]// 000000004134: D3D7004C 1D323D46
	v_mfma_i32_16x16x32_i8 v[88:91], a[72:73], a[24:25], v[88:91]// 00000000413C: D3D70058 1D623148
	v_mfma_i32_16x16x32_i8 v[88:91], a[74:75], a[26:27], v[88:91]// 000000004144: D3D70058 1D62354A
	buffer_load_dwordx4 a[124:127], v49, s[24:27], 0 offen offset:1024// 00000000414C: E05C1400 80867C31
	v_mfma_i32_16x16x32_i8 v[88:91], a[76:77], a[28:29], v[88:91]// 000000004154: D3D70058 1D62394C
	v_mfma_i32_16x16x32_i8 v[88:91], a[78:79], a[30:31], v[88:91]// 00000000415C: D3D70058 1D623D4E
	v_mfma_i32_16x16x32_i8 v[56:59], a[48:49], a[32:33], v[56:59]// 000000004164: D3D70038 1CE24130
	v_mfma_i32_16x16x32_i8 v[56:59], a[50:51], a[34:35], v[56:59]// 00000000416C: D3D70038 1CE24532
	buffer_load_dwordx4 a[128:131], v50, s[24:27], 0 offen     // 000000004174: E05C1000 80868032
	v_mfma_i32_16x16x32_i8 v[56:59], a[52:53], a[36:37], v[56:59]// 00000000417C: D3D70038 1CE24934
	v_mfma_i32_16x16x32_i8 v[56:59], a[54:55], a[38:39], v[56:59]// 000000004184: D3D70038 1CE24D36
	v_mfma_i32_16x16x32_i8 v[68:71], a[56:57], a[32:33], v[68:71]// 00000000418C: D3D70044 1D124138
	v_mfma_i32_16x16x32_i8 v[68:71], a[58:59], a[34:35], v[68:71]// 000000004194: D3D70044 1D12453A
	buffer_load_dwordx4 a[132:135], v50, s[24:27], 0 offen offset:1024// 00000000419C: E05C1400 80868432
	v_mfma_i32_16x16x32_i8 v[68:71], a[60:61], a[36:37], v[68:71]// 0000000041A4: D3D70044 1D12493C
	v_mfma_i32_16x16x32_i8 v[68:71], a[62:63], a[38:39], v[68:71]// 0000000041AC: D3D70044 1D124D3E
	v_mfma_i32_16x16x32_i8 v[80:83], a[64:65], a[32:33], v[80:83]// 0000000041B4: D3D70050 1D424140
	v_mfma_i32_16x16x32_i8 v[80:83], a[66:67], a[34:35], v[80:83]// 0000000041BC: D3D70050 1D424542
	buffer_load_dwordx4 a[136:139], v51, s[24:27], 0 offen     // 0000000041C4: E05C1000 80868833
	v_mfma_i32_16x16x32_i8 v[80:83], a[68:69], a[36:37], v[80:83]// 0000000041CC: D3D70050 1D424944
	v_mfma_i32_16x16x32_i8 v[80:83], a[70:71], a[38:39], v[80:83]// 0000000041D4: D3D70050 1D424D46
	v_mfma_i32_16x16x32_i8 v[92:95], a[72:73], a[32:33], v[92:95]// 0000000041DC: D3D7005C 1D724148
	v_mfma_i32_16x16x32_i8 v[92:95], a[74:75], a[34:35], v[92:95]// 0000000041E4: D3D7005C 1D72454A
	buffer_load_dwordx4 a[140:143], v51, s[24:27], 0 offen offset:1024// 0000000041EC: E05C1400 80868C33
	buffer_load_dword v42, s[20:23], 0 offen lds               // 0000000041F4: E0511000 8005002A
	s_add_u32 m0, 0x100, s50                                   // 0000000041FC: 807C32FF 00000100
	v_mfma_i32_16x16x32_i8 v[92:95], a[76:77], a[36:37], v[92:95]// 000000004204: D3D7005C 1D72494C
	v_mfma_i32_16x16x32_i8 v[92:95], a[78:79], a[38:39], v[92:95]// 00000000420C: D3D7005C 1D724D4E
	buffer_load_dword v43, s[20:23], 0 offen lds               // 000000004214: E0511000 8005002B
	s_add_u32 m0, 0x200, s50                                   // 00000000421C: 807C32FF 00000200
	v_mfma_i32_16x16x32_i8 v[60:63], a[48:49], a[40:41], v[60:63]// 000000004224: D3D7003C 1CF25130
	v_mfma_i32_16x16x32_i8 v[60:63], a[50:51], a[42:43], v[60:63]// 00000000422C: D3D7003C 1CF25532
	buffer_load_dword v44, s[20:23], 0 offen lds               // 000000004234: E0511000 8005002C
	s_add_u32 m0, 0x300, s50                                   // 00000000423C: 807C32FF 00000300
	v_mfma_i32_16x16x32_i8 v[60:63], a[52:53], a[44:45], v[60:63]// 000000004244: D3D7003C 1CF25934
	v_mfma_i32_16x16x32_i8 v[60:63], a[54:55], a[46:47], v[60:63]// 00000000424C: D3D7003C 1CF25D36
	buffer_load_dword v45, s[20:23], 0 offen lds               // 000000004254: E0511000 8005002D
	s_add_u32 m0, 0x400, s50                                   // 00000000425C: 807C32FF 00000400
	v_mfma_i32_16x16x32_i8 v[72:75], a[56:57], a[40:41], v[72:75]// 000000004264: D3D70048 1D225138
	v_mfma_i32_16x16x32_i8 v[72:75], a[58:59], a[42:43], v[72:75]// 00000000426C: D3D70048 1D22553A
	buffer_load_dword v46, s[20:23], 0 offen lds               // 000000004274: E0511000 8005002E
	s_add_u32 m0, 0x500, s50                                   // 00000000427C: 807C32FF 00000500
	v_mfma_i32_16x16x32_i8 v[72:75], a[60:61], a[44:45], v[72:75]// 000000004284: D3D70048 1D22593C
	v_mfma_i32_16x16x32_i8 v[72:75], a[62:63], a[46:47], v[72:75]// 00000000428C: D3D70048 1D225D3E
	buffer_load_dword v47, s[20:23], 0 offen lds               // 000000004294: E0511000 8005002F
	s_add_u32 m0, 0, s48                                       // 00000000429C: 807C3080
	v_mfma_i32_16x16x32_i8 v[84:87], a[64:65], a[40:41], v[84:87]// 0000000042A0: D3D70054 1D525140
	v_mfma_i32_16x16x32_i8 v[84:87], a[66:67], a[42:43], v[84:87]// 0000000042A8: D3D70054 1D525542
	v_mfma_i32_16x16x32_i8 v[84:87], a[68:69], a[44:45], v[84:87]// 0000000042B0: D3D70054 1D525944
	v_mfma_i32_16x16x32_i8 v[84:87], a[70:71], a[46:47], v[84:87]// 0000000042B8: D3D70054 1D525D46
	v_mfma_i32_16x16x32_i8 v[96:99], a[72:73], a[40:41], v[96:99]// 0000000042C0: D3D70060 1D825148
	v_mfma_i32_16x16x32_i8 v[96:99], a[74:75], a[42:43], v[96:99]// 0000000042C8: D3D70060 1D82554A
	v_mfma_i32_16x16x32_i8 v[96:99], a[76:77], a[44:45], v[96:99]// 0000000042D0: D3D70060 1D82594C
	v_mfma_i32_16x16x32_i8 v[96:99], a[78:79], a[46:47], v[96:99]// 0000000042D8: D3D70060 1D825D4E
	s_waitcnt vmcnt(14)                                        // 0000000042E0: BF8C0F7E
	s_barrier                                                  // 0000000042E4: BF8A0000
	v_mfma_i32_16x16x32_i8 v[100:103], a[80:81], a[24:25], v[100:103]// 0000000042E8: D3D70064 1D923150
	v_mfma_i32_16x16x32_i8 v[100:103], a[82:83], a[26:27], v[100:103]// 0000000042F0: D3D70064 1D923552
	buffer_load_dwordx4 a[48:51], v48, s[84:87], 0 offen       // 0000000042F8: E05C1000 80953030
	v_mfma_i32_16x16x32_i8 v[100:103], a[84:85], a[28:29], v[100:103]// 000000004300: D3D70064 1D923954
	v_mfma_i32_16x16x32_i8 v[100:103], a[86:87], a[30:31], v[100:103]// 000000004308: D3D70064 1D923D56
	ds_read_b128 a[0:3], v2 offset:6272                        // 000000004310: DBFE1880 00000002
	ds_read_b128 a[4:7], v2 offset:6336                        // 000000004318: DBFE18C0 04000002
	v_mfma_i32_16x16x32_i8 v[112:115], a[88:89], a[24:25], v[112:115]// 000000004320: D3D70070 1DC23158
	v_mfma_i32_16x16x32_i8 v[112:115], a[90:91], a[26:27], v[112:115]// 000000004328: D3D70070 1DC2355A
	buffer_load_dwordx4 a[52:55], v48, s[84:87], 0 offen offset:1024// 000000004330: E05C1400 80953430
	v_mfma_i32_16x16x32_i8 v[112:115], a[92:93], a[28:29], v[112:115]// 000000004338: D3D70070 1DC2395C
	v_mfma_i32_16x16x32_i8 v[112:115], a[94:95], a[30:31], v[112:115]// 000000004340: D3D70070 1DC23D5E
	ds_read_b128 a[8:11], v2 offset:6784                       // 000000004348: DBFE1A80 08000002
	ds_read_b128 a[12:15], v2 offset:6848                      // 000000004350: DBFE1AC0 0C000002
	v_mfma_i32_16x16x32_i8 v[124:127], a[96:97], a[24:25], v[124:127]// 000000004358: D3D7007C 1DF23160
	v_mfma_i32_16x16x32_i8 v[124:127], a[98:99], a[26:27], v[124:127]// 000000004360: D3D7007C 1DF23562
	buffer_load_dwordx4 a[56:59], v49, s[84:87], 0 offen       // 000000004368: E05C1000 80953831
	v_mfma_i32_16x16x32_i8 v[124:127], a[100:101], a[28:29], v[124:127]// 000000004370: D3D7007C 1DF23964
	v_mfma_i32_16x16x32_i8 v[124:127], a[102:103], a[30:31], v[124:127]// 000000004378: D3D7007C 1DF23D66
	ds_read_b128 a[16:19], v2 offset:7296                      // 000000004380: DBFE1C80 10000002
	ds_read_b128 a[20:23], v2 offset:7360                      // 000000004388: DBFE1CC0 14000002
	v_mfma_i32_16x16x32_i8 v[136:139], a[104:105], a[24:25], v[136:139]// 000000004390: D3D70088 1E223168
	v_mfma_i32_16x16x32_i8 v[136:139], a[106:107], a[26:27], v[136:139]// 000000004398: D3D70088 1E22356A
	buffer_load_dwordx4 a[60:63], v49, s[84:87], 0 offen offset:1024// 0000000043A0: E05C1400 80953C31
	v_mfma_i32_16x16x32_i8 v[136:139], a[108:109], a[28:29], v[136:139]// 0000000043A8: D3D70088 1E22396C
	v_mfma_i32_16x16x32_i8 v[136:139], a[110:111], a[30:31], v[136:139]// 0000000043B0: D3D70088 1E223D6E
	v_mfma_i32_16x16x32_i8 v[104:107], a[80:81], a[32:33], v[104:107]// 0000000043B8: D3D70068 1DA24150
	v_mfma_i32_16x16x32_i8 v[104:107], a[82:83], a[34:35], v[104:107]// 0000000043C0: D3D70068 1DA24552
	buffer_load_dwordx4 a[64:67], v50, s[84:87], 0 offen       // 0000000043C8: E05C1000 80954032
	v_mfma_i32_16x16x32_i8 v[104:107], a[84:85], a[36:37], v[104:107]// 0000000043D0: D3D70068 1DA24954
	v_mfma_i32_16x16x32_i8 v[104:107], a[86:87], a[38:39], v[104:107]// 0000000043D8: D3D70068 1DA24D56
	v_mfma_i32_16x16x32_i8 v[116:119], a[88:89], a[32:33], v[116:119]// 0000000043E0: D3D70074 1DD24158
	v_mfma_i32_16x16x32_i8 v[116:119], a[90:91], a[34:35], v[116:119]// 0000000043E8: D3D70074 1DD2455A
	buffer_load_dwordx4 a[68:71], v50, s[84:87], 0 offen offset:1024// 0000000043F0: E05C1400 80954432
	v_mfma_i32_16x16x32_i8 v[116:119], a[92:93], a[36:37], v[116:119]// 0000000043F8: D3D70074 1DD2495C
	v_mfma_i32_16x16x32_i8 v[116:119], a[94:95], a[38:39], v[116:119]// 000000004400: D3D70074 1DD24D5E
	v_mfma_i32_16x16x32_i8 v[128:131], a[96:97], a[32:33], v[128:131]// 000000004408: D3D70080 1E024160
	v_mfma_i32_16x16x32_i8 v[128:131], a[98:99], a[34:35], v[128:131]// 000000004410: D3D70080 1E024562
	buffer_load_dwordx4 a[72:75], v51, s[84:87], 0 offen       // 000000004418: E05C1000 80954833
	v_mfma_i32_16x16x32_i8 v[128:131], a[100:101], a[36:37], v[128:131]// 000000004420: D3D70080 1E024964
	v_mfma_i32_16x16x32_i8 v[128:131], a[102:103], a[38:39], v[128:131]// 000000004428: D3D70080 1E024D66
	v_mfma_i32_16x16x32_i8 v[140:143], a[104:105], a[32:33], v[140:143]// 000000004430: D3D7008C 1E324168
	v_mfma_i32_16x16x32_i8 v[140:143], a[106:107], a[34:35], v[140:143]// 000000004438: D3D7008C 1E32456A
	buffer_load_dwordx4 a[76:79], v51, s[84:87], 0 offen offset:1024// 000000004440: E05C1400 80954C33
	v_mfma_i32_16x16x32_i8 v[140:143], a[108:109], a[36:37], v[140:143]// 000000004448: D3D7008C 1E32496C
	v_mfma_i32_16x16x32_i8 v[140:143], a[110:111], a[38:39], v[140:143]// 000000004450: D3D7008C 1E324D6E
	v_mfma_i32_16x16x32_i8 v[108:111], a[80:81], a[40:41], v[108:111]// 000000004458: D3D7006C 1DB25150
	v_mfma_i32_16x16x32_i8 v[108:111], a[82:83], a[42:43], v[108:111]// 000000004460: D3D7006C 1DB25552
	v_mfma_i32_16x16x32_i8 v[108:111], a[84:85], a[44:45], v[108:111]// 000000004468: D3D7006C 1DB25954
	v_mfma_i32_16x16x32_i8 v[108:111], a[86:87], a[46:47], v[108:111]// 000000004470: D3D7006C 1DB25D56
	v_mfma_i32_16x16x32_i8 v[120:123], a[88:89], a[40:41], v[120:123]// 000000004478: D3D70078 1DE25158
	v_mfma_i32_16x16x32_i8 v[120:123], a[90:91], a[42:43], v[120:123]// 000000004480: D3D70078 1DE2555A
	v_mfma_i32_16x16x32_i8 v[120:123], a[92:93], a[44:45], v[120:123]// 000000004488: D3D70078 1DE2595C
	v_mfma_i32_16x16x32_i8 v[120:123], a[94:95], a[46:47], v[120:123]// 000000004490: D3D70078 1DE25D5E
	v_mfma_i32_16x16x32_i8 v[132:135], a[96:97], a[40:41], v[132:135]// 000000004498: D3D70084 1E125160
	s_add_u32 s60, 0x180, s80                                  // 0000000044A0: 803C50FF 00000180
	s_cmp_lt_u32 s60, s81                                      // 0000000044A8: BF0A513C
	s_cselect_b32 s57, s57, 0                                  // 0000000044AC: 85398039
	v_mfma_i32_16x16x32_i8 v[132:135], a[98:99], a[42:43], v[132:135]// 0000000044B0: D3D70084 1E125562
	s_add_u32 s60, 0x100, s80                                  // 0000000044B8: 803C50FF 00000100
	s_cmp_lt_u32 s60, s81                                      // 0000000044C0: BF0A513C
	s_cselect_b32 s58, s58, 0                                  // 0000000044C4: 853A803A
	v_mfma_i32_16x16x32_i8 v[132:135], a[100:101], a[44:45], v[132:135]// 0000000044C8: D3D70084 1E125964
	s_add_u32 s60, 0x100, s80                                  // 0000000044D0: 803C50FF 00000100
	s_cmp_lt_u32 s60, s81                                      // 0000000044D8: BF0A513C
	s_cselect_b32 s83, s83, 0                                  // 0000000044DC: 85538053
	v_mfma_i32_16x16x32_i8 v[132:135], a[102:103], a[46:47], v[132:135]// 0000000044E0: D3D70084 1E125D66
	s_add_u32 s24, s58, s24                                    // 0000000044E8: 8018183A
	s_addc_u32 s25, 0, s25                                     // 0000000044EC: 82191980
	v_mfma_i32_16x16x32_i8 v[144:147], a[104:105], a[40:41], v[144:147]// 0000000044F0: D3D70090 1E425168
	s_add_u32 s20, s57, s20                                    // 0000000044F8: 80141439
	s_addc_u32 s21, 0, s21                                     // 0000000044FC: 82151580
	v_mfma_i32_16x16x32_i8 v[144:147], a[106:107], a[42:43], v[144:147]// 000000004500: D3D70090 1E42556A
	s_add_u32 s84, s83, s84                                    // 000000004508: 80545453
	s_addc_u32 s85, 0, s85                                     // 00000000450C: 82555580
	v_mfma_i32_16x16x32_i8 v[144:147], a[108:109], a[44:45], v[144:147]// 000000004510: D3D70090 1E42596C
	v_mfma_i32_16x16x32_i8 v[144:147], a[110:111], a[46:47], v[144:147]// 000000004518: D3D70090 1E425D6E
	s_addk_i32 s80, 0x80                                       // 000000004520: B7500080
	s_cmp_lt_i32 s80, s81                                      // 000000004524: BF045150
	s_cbranch_scc0 label_0902                                  // 000000004528: BF840237
	s_waitcnt vmcnt(14) lgkmcnt(0)                             // 00000000452C: BF8C007E
	v_mfma_i32_16x16x32_i8 v[52:55], a[112:113], a[0:1], v[52:55]// 000000004530: D3D70034 1CD20170
	v_mfma_i32_16x16x32_i8 v[52:55], a[114:115], a[2:3], v[52:55]// 000000004538: D3D70034 1CD20572
	buffer_load_dwordx4 a[80:83], v48, s[24:27], 0 offen       // 000000004540: E05C1000 80865030
	v_mfma_i32_16x16x32_i8 v[52:55], a[116:117], a[4:5], v[52:55]// 000000004548: D3D70034 1CD20974
	v_mfma_i32_16x16x32_i8 v[52:55], a[118:119], a[6:7], v[52:55]// 000000004550: D3D70034 1CD20D76
	v_mfma_i32_16x16x32_i8 v[64:67], a[120:121], a[0:1], v[64:67]// 000000004558: D3D70040 1D020178
	v_mfma_i32_16x16x32_i8 v[64:67], a[122:123], a[2:3], v[64:67]// 000000004560: D3D70040 1D02057A
	buffer_load_dwordx4 a[84:87], v48, s[24:27], 0 offen offset:1024// 000000004568: E05C1400 80865430
	v_mfma_i32_16x16x32_i8 v[64:67], a[124:125], a[4:5], v[64:67]// 000000004570: D3D70040 1D02097C
	v_mfma_i32_16x16x32_i8 v[64:67], a[126:127], a[6:7], v[64:67]// 000000004578: D3D70040 1D020D7E
	v_mfma_i32_16x16x32_i8 v[76:79], a[128:129], a[0:1], v[76:79]// 000000004580: D3D7004C 1D320180
	v_mfma_i32_16x16x32_i8 v[76:79], a[130:131], a[2:3], v[76:79]// 000000004588: D3D7004C 1D320582
	buffer_load_dwordx4 a[88:91], v49, s[24:27], 0 offen       // 000000004590: E05C1000 80865831
	v_mfma_i32_16x16x32_i8 v[76:79], a[132:133], a[4:5], v[76:79]// 000000004598: D3D7004C 1D320984
	v_mfma_i32_16x16x32_i8 v[76:79], a[134:135], a[6:7], v[76:79]// 0000000045A0: D3D7004C 1D320D86
	v_mfma_i32_16x16x32_i8 v[88:91], a[136:137], a[0:1], v[88:91]// 0000000045A8: D3D70058 1D620188
	v_mfma_i32_16x16x32_i8 v[88:91], a[138:139], a[2:3], v[88:91]// 0000000045B0: D3D70058 1D62058A
	buffer_load_dwordx4 a[92:95], v49, s[24:27], 0 offen offset:1024// 0000000045B8: E05C1400 80865C31
	v_mfma_i32_16x16x32_i8 v[88:91], a[140:141], a[4:5], v[88:91]// 0000000045C0: D3D70058 1D62098C
	v_mfma_i32_16x16x32_i8 v[88:91], a[142:143], a[6:7], v[88:91]// 0000000045C8: D3D70058 1D620D8E
	v_mfma_i32_16x16x32_i8 v[56:59], a[112:113], a[8:9], v[56:59]// 0000000045D0: D3D70038 1CE21170
	v_mfma_i32_16x16x32_i8 v[56:59], a[114:115], a[10:11], v[56:59]// 0000000045D8: D3D70038 1CE21572
	buffer_load_dwordx4 a[96:99], v50, s[24:27], 0 offen       // 0000000045E0: E05C1000 80866032
	v_mfma_i32_16x16x32_i8 v[56:59], a[116:117], a[12:13], v[56:59]// 0000000045E8: D3D70038 1CE21974
	v_mfma_i32_16x16x32_i8 v[56:59], a[118:119], a[14:15], v[56:59]// 0000000045F0: D3D70038 1CE21D76
	v_mfma_i32_16x16x32_i8 v[68:71], a[120:121], a[8:9], v[68:71]// 0000000045F8: D3D70044 1D121178
	v_mfma_i32_16x16x32_i8 v[68:71], a[122:123], a[10:11], v[68:71]// 000000004600: D3D70044 1D12157A
	buffer_load_dwordx4 a[100:103], v50, s[24:27], 0 offen offset:1024// 000000004608: E05C1400 80866432
	v_mfma_i32_16x16x32_i8 v[68:71], a[124:125], a[12:13], v[68:71]// 000000004610: D3D70044 1D12197C
	v_mfma_i32_16x16x32_i8 v[68:71], a[126:127], a[14:15], v[68:71]// 000000004618: D3D70044 1D121D7E
	v_mfma_i32_16x16x32_i8 v[80:83], a[128:129], a[8:9], v[80:83]// 000000004620: D3D70050 1D421180
	v_mfma_i32_16x16x32_i8 v[80:83], a[130:131], a[10:11], v[80:83]// 000000004628: D3D70050 1D421582
	buffer_load_dwordx4 a[104:107], v51, s[24:27], 0 offen     // 000000004630: E05C1000 80866833
	v_mfma_i32_16x16x32_i8 v[80:83], a[132:133], a[12:13], v[80:83]// 000000004638: D3D70050 1D421984
	v_mfma_i32_16x16x32_i8 v[80:83], a[134:135], a[14:15], v[80:83]// 000000004640: D3D70050 1D421D86
	v_mfma_i32_16x16x32_i8 v[92:95], a[136:137], a[8:9], v[92:95]// 000000004648: D3D7005C 1D721188
	v_mfma_i32_16x16x32_i8 v[92:95], a[138:139], a[10:11], v[92:95]// 000000004650: D3D7005C 1D72158A
	buffer_load_dwordx4 a[108:111], v51, s[24:27], 0 offen offset:1024// 000000004658: E05C1400 80866C33
	buffer_load_dword v42, s[20:23], 0 offen lds               // 000000004660: E0511000 8005002A
	s_add_u32 m0, 0x100, s48                                   // 000000004668: 807C30FF 00000100
	v_mfma_i32_16x16x32_i8 v[92:95], a[140:141], a[12:13], v[92:95]// 000000004670: D3D7005C 1D72198C
	v_mfma_i32_16x16x32_i8 v[92:95], a[142:143], a[14:15], v[92:95]// 000000004678: D3D7005C 1D721D8E
	buffer_load_dword v43, s[20:23], 0 offen lds               // 000000004680: E0511000 8005002B
	s_add_u32 m0, 0x200, s48                                   // 000000004688: 807C30FF 00000200
	v_mfma_i32_16x16x32_i8 v[60:63], a[112:113], a[16:17], v[60:63]// 000000004690: D3D7003C 1CF22170
	v_mfma_i32_16x16x32_i8 v[60:63], a[114:115], a[18:19], v[60:63]// 000000004698: D3D7003C 1CF22572
	buffer_load_dword v44, s[20:23], 0 offen lds               // 0000000046A0: E0511000 8005002C
	s_add_u32 m0, 0x300, s48                                   // 0000000046A8: 807C30FF 00000300
	v_mfma_i32_16x16x32_i8 v[60:63], a[116:117], a[20:21], v[60:63]// 0000000046B0: D3D7003C 1CF22974
	v_mfma_i32_16x16x32_i8 v[60:63], a[118:119], a[22:23], v[60:63]// 0000000046B8: D3D7003C 1CF22D76
	buffer_load_dword v45, s[20:23], 0 offen lds               // 0000000046C0: E0511000 8005002D
	s_add_u32 m0, 0x400, s48                                   // 0000000046C8: 807C30FF 00000400
	v_mfma_i32_16x16x32_i8 v[72:75], a[120:121], a[16:17], v[72:75]// 0000000046D0: D3D70048 1D222178
	v_mfma_i32_16x16x32_i8 v[72:75], a[122:123], a[18:19], v[72:75]// 0000000046D8: D3D70048 1D22257A
	buffer_load_dword v46, s[20:23], 0 offen lds               // 0000000046E0: E0511000 8005002E
	s_add_u32 m0, 0x500, s48                                   // 0000000046E8: 807C30FF 00000500
	v_mfma_i32_16x16x32_i8 v[72:75], a[124:125], a[20:21], v[72:75]// 0000000046F0: D3D70048 1D22297C
	v_mfma_i32_16x16x32_i8 v[72:75], a[126:127], a[22:23], v[72:75]// 0000000046F8: D3D70048 1D222D7E
	buffer_load_dword v47, s[20:23], 0 offen lds               // 000000004700: E0511000 8005002F
	s_add_u32 m0, 0, s49                                       // 000000004708: 807C3180
	v_mfma_i32_16x16x32_i8 v[84:87], a[128:129], a[16:17], v[84:87]// 00000000470C: D3D70054 1D522180
	v_mfma_i32_16x16x32_i8 v[84:87], a[130:131], a[18:19], v[84:87]// 000000004714: D3D70054 1D522582
	v_mfma_i32_16x16x32_i8 v[84:87], a[132:133], a[20:21], v[84:87]// 00000000471C: D3D70054 1D522984
	v_mfma_i32_16x16x32_i8 v[84:87], a[134:135], a[22:23], v[84:87]// 000000004724: D3D70054 1D522D86
	v_mfma_i32_16x16x32_i8 v[96:99], a[136:137], a[16:17], v[96:99]// 00000000472C: D3D70060 1D822188
	v_mfma_i32_16x16x32_i8 v[96:99], a[138:139], a[18:19], v[96:99]// 000000004734: D3D70060 1D82258A
	v_mfma_i32_16x16x32_i8 v[96:99], a[140:141], a[20:21], v[96:99]// 00000000473C: D3D70060 1D82298C
	v_mfma_i32_16x16x32_i8 v[96:99], a[142:143], a[22:23], v[96:99]// 000000004744: D3D70060 1D822D8E
	s_waitcnt vmcnt(14)                                        // 00000000474C: BF8C0F7E
	s_barrier                                                  // 000000004750: BF8A0000
	v_mfma_i32_16x16x32_i8 v[100:103], a[48:49], a[0:1], v[100:103]// 000000004754: D3D70064 1D920130
	v_mfma_i32_16x16x32_i8 v[100:103], a[50:51], a[2:3], v[100:103]// 00000000475C: D3D70064 1D920532
	buffer_load_dwordx4 a[112:115], v48, s[84:87], 0 offen     // 000000004764: E05C1000 80957030
	v_mfma_i32_16x16x32_i8 v[100:103], a[52:53], a[4:5], v[100:103]// 00000000476C: D3D70064 1D920934
	v_mfma_i32_16x16x32_i8 v[100:103], a[54:55], a[6:7], v[100:103]// 000000004774: D3D70064 1D920D36
	ds_read_b128 a[24:27], v2 offset:12544                     // 00000000477C: DBFE3100 18000002
	ds_read_b128 a[28:31], v2 offset:12608                     // 000000004784: DBFE3140 1C000002
	v_mfma_i32_16x16x32_i8 v[112:115], a[56:57], a[0:1], v[112:115]// 00000000478C: D3D70070 1DC20138
	v_mfma_i32_16x16x32_i8 v[112:115], a[58:59], a[2:3], v[112:115]// 000000004794: D3D70070 1DC2053A
	buffer_load_dwordx4 a[116:119], v48, s[84:87], 0 offen offset:1024// 00000000479C: E05C1400 80957430
	v_mfma_i32_16x16x32_i8 v[112:115], a[60:61], a[4:5], v[112:115]// 0000000047A4: D3D70070 1DC2093C
	v_mfma_i32_16x16x32_i8 v[112:115], a[62:63], a[6:7], v[112:115]// 0000000047AC: D3D70070 1DC20D3E
	ds_read_b128 a[32:35], v2 offset:13056                     // 0000000047B4: DBFE3300 20000002
	ds_read_b128 a[36:39], v2 offset:13120                     // 0000000047BC: DBFE3340 24000002
	v_mfma_i32_16x16x32_i8 v[124:127], a[64:65], a[0:1], v[124:127]// 0000000047C4: D3D7007C 1DF20140
	v_mfma_i32_16x16x32_i8 v[124:127], a[66:67], a[2:3], v[124:127]// 0000000047CC: D3D7007C 1DF20542
	buffer_load_dwordx4 a[120:123], v49, s[84:87], 0 offen     // 0000000047D4: E05C1000 80957831
	v_mfma_i32_16x16x32_i8 v[124:127], a[68:69], a[4:5], v[124:127]// 0000000047DC: D3D7007C 1DF20944
	v_mfma_i32_16x16x32_i8 v[124:127], a[70:71], a[6:7], v[124:127]// 0000000047E4: D3D7007C 1DF20D46
	ds_read_b128 a[40:43], v2 offset:13568                     // 0000000047EC: DBFE3500 28000002
	ds_read_b128 a[44:47], v2 offset:13632                     // 0000000047F4: DBFE3540 2C000002
	v_mfma_i32_16x16x32_i8 v[136:139], a[72:73], a[0:1], v[136:139]// 0000000047FC: D3D70088 1E220148
	v_mfma_i32_16x16x32_i8 v[136:139], a[74:75], a[2:3], v[136:139]// 000000004804: D3D70088 1E22054A
	buffer_load_dwordx4 a[124:127], v49, s[84:87], 0 offen offset:1024// 00000000480C: E05C1400 80957C31
	v_mfma_i32_16x16x32_i8 v[136:139], a[76:77], a[4:5], v[136:139]// 000000004814: D3D70088 1E22094C
	v_mfma_i32_16x16x32_i8 v[136:139], a[78:79], a[6:7], v[136:139]// 00000000481C: D3D70088 1E220D4E
	v_mfma_i32_16x16x32_i8 v[104:107], a[48:49], a[8:9], v[104:107]// 000000004824: D3D70068 1DA21130
	v_mfma_i32_16x16x32_i8 v[104:107], a[50:51], a[10:11], v[104:107]// 00000000482C: D3D70068 1DA21532
	buffer_load_dwordx4 a[128:131], v50, s[84:87], 0 offen     // 000000004834: E05C1000 80958032
	v_mfma_i32_16x16x32_i8 v[104:107], a[52:53], a[12:13], v[104:107]// 00000000483C: D3D70068 1DA21934
	v_mfma_i32_16x16x32_i8 v[104:107], a[54:55], a[14:15], v[104:107]// 000000004844: D3D70068 1DA21D36
	v_mfma_i32_16x16x32_i8 v[116:119], a[56:57], a[8:9], v[116:119]// 00000000484C: D3D70074 1DD21138
	v_mfma_i32_16x16x32_i8 v[116:119], a[58:59], a[10:11], v[116:119]// 000000004854: D3D70074 1DD2153A
	buffer_load_dwordx4 a[132:135], v50, s[84:87], 0 offen offset:1024// 00000000485C: E05C1400 80958432
	v_mfma_i32_16x16x32_i8 v[116:119], a[60:61], a[12:13], v[116:119]// 000000004864: D3D70074 1DD2193C
	v_mfma_i32_16x16x32_i8 v[116:119], a[62:63], a[14:15], v[116:119]// 00000000486C: D3D70074 1DD21D3E
	v_mfma_i32_16x16x32_i8 v[128:131], a[64:65], a[8:9], v[128:131]// 000000004874: D3D70080 1E021140
	v_mfma_i32_16x16x32_i8 v[128:131], a[66:67], a[10:11], v[128:131]// 00000000487C: D3D70080 1E021542
	buffer_load_dwordx4 a[136:139], v51, s[84:87], 0 offen     // 000000004884: E05C1000 80958833
	v_mfma_i32_16x16x32_i8 v[128:131], a[68:69], a[12:13], v[128:131]// 00000000488C: D3D70080 1E021944
	v_mfma_i32_16x16x32_i8 v[128:131], a[70:71], a[14:15], v[128:131]// 000000004894: D3D70080 1E021D46
	v_mfma_i32_16x16x32_i8 v[140:143], a[72:73], a[8:9], v[140:143]// 00000000489C: D3D7008C 1E321148
	v_mfma_i32_16x16x32_i8 v[140:143], a[74:75], a[10:11], v[140:143]// 0000000048A4: D3D7008C 1E32154A
	buffer_load_dwordx4 a[140:143], v51, s[84:87], 0 offen offset:1024// 0000000048AC: E05C1400 80958C33
	v_mfma_i32_16x16x32_i8 v[140:143], a[76:77], a[12:13], v[140:143]// 0000000048B4: D3D7008C 1E32194C
	v_mfma_i32_16x16x32_i8 v[140:143], a[78:79], a[14:15], v[140:143]// 0000000048BC: D3D7008C 1E321D4E
	v_mfma_i32_16x16x32_i8 v[108:111], a[48:49], a[16:17], v[108:111]// 0000000048C4: D3D7006C 1DB22130
	v_mfma_i32_16x16x32_i8 v[108:111], a[50:51], a[18:19], v[108:111]// 0000000048CC: D3D7006C 1DB22532
	v_mfma_i32_16x16x32_i8 v[108:111], a[52:53], a[20:21], v[108:111]// 0000000048D4: D3D7006C 1DB22934
	v_mfma_i32_16x16x32_i8 v[108:111], a[54:55], a[22:23], v[108:111]// 0000000048DC: D3D7006C 1DB22D36
	v_mfma_i32_16x16x32_i8 v[120:123], a[56:57], a[16:17], v[120:123]// 0000000048E4: D3D70078 1DE22138
	v_mfma_i32_16x16x32_i8 v[120:123], a[58:59], a[18:19], v[120:123]// 0000000048EC: D3D70078 1DE2253A
	v_mfma_i32_16x16x32_i8 v[120:123], a[60:61], a[20:21], v[120:123]// 0000000048F4: D3D70078 1DE2293C
	v_mfma_i32_16x16x32_i8 v[120:123], a[62:63], a[22:23], v[120:123]// 0000000048FC: D3D70078 1DE22D3E
	v_mfma_i32_16x16x32_i8 v[132:135], a[64:65], a[16:17], v[132:135]// 000000004904: D3D70084 1E122140
	s_add_u32 s60, 0x180, s80                                  // 00000000490C: 803C50FF 00000180
	s_cmp_lt_u32 s60, s81                                      // 000000004914: BF0A513C
	s_cselect_b32 s57, s57, 0                                  // 000000004918: 85398039
	v_mfma_i32_16x16x32_i8 v[132:135], a[66:67], a[18:19], v[132:135]// 00000000491C: D3D70084 1E122542
	s_add_u32 s60, 0x100, s80                                  // 000000004924: 803C50FF 00000100
	s_cmp_lt_u32 s60, s81                                      // 00000000492C: BF0A513C
	s_cselect_b32 s58, s58, 0                                  // 000000004930: 853A803A
	v_mfma_i32_16x16x32_i8 v[132:135], a[68:69], a[20:21], v[132:135]// 000000004934: D3D70084 1E122944
	s_add_u32 s60, 0x100, s80                                  // 00000000493C: 803C50FF 00000100
	s_cmp_lt_u32 s60, s81                                      // 000000004944: BF0A513C
	s_cselect_b32 s83, s83, 0                                  // 000000004948: 85538053
	v_mfma_i32_16x16x32_i8 v[132:135], a[70:71], a[22:23], v[132:135]// 00000000494C: D3D70084 1E122D46
	s_add_u32 s24, s58, s24                                    // 000000004954: 8018183A
	s_addc_u32 s25, 0, s25                                     // 000000004958: 82191980
	v_mfma_i32_16x16x32_i8 v[144:147], a[72:73], a[16:17], v[144:147]// 00000000495C: D3D70090 1E422148
	s_add_u32 s20, s57, s20                                    // 000000004964: 80141439
	s_addc_u32 s21, 0, s21                                     // 000000004968: 82151580
	v_mfma_i32_16x16x32_i8 v[144:147], a[74:75], a[18:19], v[144:147]// 00000000496C: D3D70090 1E42254A
	s_add_u32 s84, s83, s84                                    // 000000004974: 80545453
	s_addc_u32 s85, 0, s85                                     // 000000004978: 82555580
	v_mfma_i32_16x16x32_i8 v[144:147], a[76:77], a[20:21], v[144:147]// 00000000497C: D3D70090 1E42294C
	v_mfma_i32_16x16x32_i8 v[144:147], a[78:79], a[22:23], v[144:147]// 000000004984: D3D70090 1E422D4E
	s_addk_i32 s80, 0x80                                       // 00000000498C: B7500080
	s_cmp_lt_i32 s80, s81                                      // 000000004990: BF045150
	s_cbranch_scc0 label_0902                                  // 000000004994: BF84011C
	s_waitcnt vmcnt(14) lgkmcnt(0)                             // 000000004998: BF8C007E
	v_mfma_i32_16x16x32_i8 v[52:55], a[80:81], a[24:25], v[52:55]// 00000000499C: D3D70034 1CD23150
	v_mfma_i32_16x16x32_i8 v[52:55], a[82:83], a[26:27], v[52:55]// 0000000049A4: D3D70034 1CD23552
	buffer_load_dwordx4 a[48:51], v48, s[24:27], 0 offen       // 0000000049AC: E05C1000 80863030
	v_mfma_i32_16x16x32_i8 v[52:55], a[84:85], a[28:29], v[52:55]// 0000000049B4: D3D70034 1CD23954
	v_mfma_i32_16x16x32_i8 v[52:55], a[86:87], a[30:31], v[52:55]// 0000000049BC: D3D70034 1CD23D56
	v_mfma_i32_16x16x32_i8 v[64:67], a[88:89], a[24:25], v[64:67]// 0000000049C4: D3D70040 1D023158
	v_mfma_i32_16x16x32_i8 v[64:67], a[90:91], a[26:27], v[64:67]// 0000000049CC: D3D70040 1D02355A
	buffer_load_dwordx4 a[52:55], v48, s[24:27], 0 offen offset:1024// 0000000049D4: E05C1400 80863430
	v_mfma_i32_16x16x32_i8 v[64:67], a[92:93], a[28:29], v[64:67]// 0000000049DC: D3D70040 1D02395C
	v_mfma_i32_16x16x32_i8 v[64:67], a[94:95], a[30:31], v[64:67]// 0000000049E4: D3D70040 1D023D5E
	v_mfma_i32_16x16x32_i8 v[76:79], a[96:97], a[24:25], v[76:79]// 0000000049EC: D3D7004C 1D323160
	v_mfma_i32_16x16x32_i8 v[76:79], a[98:99], a[26:27], v[76:79]// 0000000049F4: D3D7004C 1D323562
	buffer_load_dwordx4 a[56:59], v49, s[24:27], 0 offen       // 0000000049FC: E05C1000 80863831
	v_mfma_i32_16x16x32_i8 v[76:79], a[100:101], a[28:29], v[76:79]// 000000004A04: D3D7004C 1D323964
	v_mfma_i32_16x16x32_i8 v[76:79], a[102:103], a[30:31], v[76:79]// 000000004A0C: D3D7004C 1D323D66
	v_mfma_i32_16x16x32_i8 v[88:91], a[104:105], a[24:25], v[88:91]// 000000004A14: D3D70058 1D623168
	v_mfma_i32_16x16x32_i8 v[88:91], a[106:107], a[26:27], v[88:91]// 000000004A1C: D3D70058 1D62356A
	buffer_load_dwordx4 a[60:63], v49, s[24:27], 0 offen offset:1024// 000000004A24: E05C1400 80863C31
	v_mfma_i32_16x16x32_i8 v[88:91], a[108:109], a[28:29], v[88:91]// 000000004A2C: D3D70058 1D62396C
	v_mfma_i32_16x16x32_i8 v[88:91], a[110:111], a[30:31], v[88:91]// 000000004A34: D3D70058 1D623D6E
	v_mfma_i32_16x16x32_i8 v[56:59], a[80:81], a[32:33], v[56:59]// 000000004A3C: D3D70038 1CE24150
	v_mfma_i32_16x16x32_i8 v[56:59], a[82:83], a[34:35], v[56:59]// 000000004A44: D3D70038 1CE24552
	buffer_load_dwordx4 a[64:67], v50, s[24:27], 0 offen       // 000000004A4C: E05C1000 80864032
	v_mfma_i32_16x16x32_i8 v[56:59], a[84:85], a[36:37], v[56:59]// 000000004A54: D3D70038 1CE24954
	v_mfma_i32_16x16x32_i8 v[56:59], a[86:87], a[38:39], v[56:59]// 000000004A5C: D3D70038 1CE24D56
	v_mfma_i32_16x16x32_i8 v[68:71], a[88:89], a[32:33], v[68:71]// 000000004A64: D3D70044 1D124158
	v_mfma_i32_16x16x32_i8 v[68:71], a[90:91], a[34:35], v[68:71]// 000000004A6C: D3D70044 1D12455A
	buffer_load_dwordx4 a[68:71], v50, s[24:27], 0 offen offset:1024// 000000004A74: E05C1400 80864432
	v_mfma_i32_16x16x32_i8 v[68:71], a[92:93], a[36:37], v[68:71]// 000000004A7C: D3D70044 1D12495C
	v_mfma_i32_16x16x32_i8 v[68:71], a[94:95], a[38:39], v[68:71]// 000000004A84: D3D70044 1D124D5E
	v_mfma_i32_16x16x32_i8 v[80:83], a[96:97], a[32:33], v[80:83]// 000000004A8C: D3D70050 1D424160
	v_mfma_i32_16x16x32_i8 v[80:83], a[98:99], a[34:35], v[80:83]// 000000004A94: D3D70050 1D424562
	buffer_load_dwordx4 a[72:75], v51, s[24:27], 0 offen       // 000000004A9C: E05C1000 80864833
	v_mfma_i32_16x16x32_i8 v[80:83], a[100:101], a[36:37], v[80:83]// 000000004AA4: D3D70050 1D424964
	v_mfma_i32_16x16x32_i8 v[80:83], a[102:103], a[38:39], v[80:83]// 000000004AAC: D3D70050 1D424D66
	v_mfma_i32_16x16x32_i8 v[92:95], a[104:105], a[32:33], v[92:95]// 000000004AB4: D3D7005C 1D724168
	v_mfma_i32_16x16x32_i8 v[92:95], a[106:107], a[34:35], v[92:95]// 000000004ABC: D3D7005C 1D72456A
	buffer_load_dwordx4 a[76:79], v51, s[24:27], 0 offen offset:1024// 000000004AC4: E05C1400 80864C33
	buffer_load_dword v42, s[20:23], 0 offen lds               // 000000004ACC: E0511000 8005002A
	s_add_u32 m0, 0x100, s49                                   // 000000004AD4: 807C31FF 00000100
	v_mfma_i32_16x16x32_i8 v[92:95], a[108:109], a[36:37], v[92:95]// 000000004ADC: D3D7005C 1D72496C
	v_mfma_i32_16x16x32_i8 v[92:95], a[110:111], a[38:39], v[92:95]// 000000004AE4: D3D7005C 1D724D6E
	buffer_load_dword v43, s[20:23], 0 offen lds               // 000000004AEC: E0511000 8005002B
	s_add_u32 m0, 0x200, s49                                   // 000000004AF4: 807C31FF 00000200
	v_mfma_i32_16x16x32_i8 v[60:63], a[80:81], a[40:41], v[60:63]// 000000004AFC: D3D7003C 1CF25150
	v_mfma_i32_16x16x32_i8 v[60:63], a[82:83], a[42:43], v[60:63]// 000000004B04: D3D7003C 1CF25552
	buffer_load_dword v44, s[20:23], 0 offen lds               // 000000004B0C: E0511000 8005002C
	s_add_u32 m0, 0x300, s49                                   // 000000004B14: 807C31FF 00000300
	v_mfma_i32_16x16x32_i8 v[60:63], a[84:85], a[44:45], v[60:63]// 000000004B1C: D3D7003C 1CF25954
	v_mfma_i32_16x16x32_i8 v[60:63], a[86:87], a[46:47], v[60:63]// 000000004B24: D3D7003C 1CF25D56
	buffer_load_dword v45, s[20:23], 0 offen lds               // 000000004B2C: E0511000 8005002D
	s_add_u32 m0, 0x400, s49                                   // 000000004B34: 807C31FF 00000400
	v_mfma_i32_16x16x32_i8 v[72:75], a[88:89], a[40:41], v[72:75]// 000000004B3C: D3D70048 1D225158
	v_mfma_i32_16x16x32_i8 v[72:75], a[90:91], a[42:43], v[72:75]// 000000004B44: D3D70048 1D22555A
	buffer_load_dword v46, s[20:23], 0 offen lds               // 000000004B4C: E0511000 8005002E
	s_add_u32 m0, 0x500, s49                                   // 000000004B54: 807C31FF 00000500
	v_mfma_i32_16x16x32_i8 v[72:75], a[92:93], a[44:45], v[72:75]// 000000004B5C: D3D70048 1D22595C
	v_mfma_i32_16x16x32_i8 v[72:75], a[94:95], a[46:47], v[72:75]// 000000004B64: D3D70048 1D225D5E
	buffer_load_dword v47, s[20:23], 0 offen lds               // 000000004B6C: E0511000 8005002F
	s_add_u32 m0, 0, s50                                       // 000000004B74: 807C3280
	v_mfma_i32_16x16x32_i8 v[84:87], a[96:97], a[40:41], v[84:87]// 000000004B78: D3D70054 1D525160
	v_mfma_i32_16x16x32_i8 v[84:87], a[98:99], a[42:43], v[84:87]// 000000004B80: D3D70054 1D525562
	v_mfma_i32_16x16x32_i8 v[84:87], a[100:101], a[44:45], v[84:87]// 000000004B88: D3D70054 1D525964
	v_mfma_i32_16x16x32_i8 v[84:87], a[102:103], a[46:47], v[84:87]// 000000004B90: D3D70054 1D525D66
	v_mfma_i32_16x16x32_i8 v[96:99], a[104:105], a[40:41], v[96:99]// 000000004B98: D3D70060 1D825168
	v_mfma_i32_16x16x32_i8 v[96:99], a[106:107], a[42:43], v[96:99]// 000000004BA0: D3D70060 1D82556A
	v_mfma_i32_16x16x32_i8 v[96:99], a[108:109], a[44:45], v[96:99]// 000000004BA8: D3D70060 1D82596C
	v_mfma_i32_16x16x32_i8 v[96:99], a[110:111], a[46:47], v[96:99]// 000000004BB0: D3D70060 1D825D6E
	s_waitcnt vmcnt(14)                                        // 000000004BB8: BF8C0F7E
	s_barrier                                                  // 000000004BBC: BF8A0000
	v_mfma_i32_16x16x32_i8 v[100:103], a[112:113], a[24:25], v[100:103]// 000000004BC0: D3D70064 1D923170
	v_mfma_i32_16x16x32_i8 v[100:103], a[114:115], a[26:27], v[100:103]// 000000004BC8: D3D70064 1D923572
	buffer_load_dwordx4 a[80:83], v48, s[84:87], 0 offen       // 000000004BD0: E05C1000 80955030
	v_mfma_i32_16x16x32_i8 v[100:103], a[116:117], a[28:29], v[100:103]// 000000004BD8: D3D70064 1D923974
	v_mfma_i32_16x16x32_i8 v[100:103], a[118:119], a[30:31], v[100:103]// 000000004BE0: D3D70064 1D923D76
	ds_read_b128 a[0:3], v2                                    // 000000004BE8: DBFE0000 00000002
	ds_read_b128 a[4:7], v2 offset:64                          // 000000004BF0: DBFE0040 04000002
	v_mfma_i32_16x16x32_i8 v[112:115], a[120:121], a[24:25], v[112:115]// 000000004BF8: D3D70070 1DC23178
	v_mfma_i32_16x16x32_i8 v[112:115], a[122:123], a[26:27], v[112:115]// 000000004C00: D3D70070 1DC2357A
	buffer_load_dwordx4 a[84:87], v48, s[84:87], 0 offen offset:1024// 000000004C08: E05C1400 80955430
	v_mfma_i32_16x16x32_i8 v[112:115], a[124:125], a[28:29], v[112:115]// 000000004C10: D3D70070 1DC2397C
	v_mfma_i32_16x16x32_i8 v[112:115], a[126:127], a[30:31], v[112:115]// 000000004C18: D3D70070 1DC23D7E
	ds_read_b128 a[8:11], v2 offset:512                        // 000000004C20: DBFE0200 08000002
	ds_read_b128 a[12:15], v2 offset:576                       // 000000004C28: DBFE0240 0C000002
	v_mfma_i32_16x16x32_i8 v[124:127], a[128:129], a[24:25], v[124:127]// 000000004C30: D3D7007C 1DF23180
	v_mfma_i32_16x16x32_i8 v[124:127], a[130:131], a[26:27], v[124:127]// 000000004C38: D3D7007C 1DF23582
	buffer_load_dwordx4 a[88:91], v49, s[84:87], 0 offen       // 000000004C40: E05C1000 80955831
	v_mfma_i32_16x16x32_i8 v[124:127], a[132:133], a[28:29], v[124:127]// 000000004C48: D3D7007C 1DF23984
	v_mfma_i32_16x16x32_i8 v[124:127], a[134:135], a[30:31], v[124:127]// 000000004C50: D3D7007C 1DF23D86
	ds_read_b128 a[16:19], v2 offset:1024                      // 000000004C58: DBFE0400 10000002
	ds_read_b128 a[20:23], v2 offset:1088                      // 000000004C60: DBFE0440 14000002
	v_mfma_i32_16x16x32_i8 v[136:139], a[136:137], a[24:25], v[136:139]// 000000004C68: D3D70088 1E223188
	v_mfma_i32_16x16x32_i8 v[136:139], a[138:139], a[26:27], v[136:139]// 000000004C70: D3D70088 1E22358A
	buffer_load_dwordx4 a[92:95], v49, s[84:87], 0 offen offset:1024// 000000004C78: E05C1400 80955C31
	v_mfma_i32_16x16x32_i8 v[136:139], a[140:141], a[28:29], v[136:139]// 000000004C80: D3D70088 1E22398C
	v_mfma_i32_16x16x32_i8 v[136:139], a[142:143], a[30:31], v[136:139]// 000000004C88: D3D70088 1E223D8E
	v_mfma_i32_16x16x32_i8 v[104:107], a[112:113], a[32:33], v[104:107]// 000000004C90: D3D70068 1DA24170
	v_mfma_i32_16x16x32_i8 v[104:107], a[114:115], a[34:35], v[104:107]// 000000004C98: D3D70068 1DA24572
	buffer_load_dwordx4 a[96:99], v50, s[84:87], 0 offen       // 000000004CA0: E05C1000 80956032
	v_mfma_i32_16x16x32_i8 v[104:107], a[116:117], a[36:37], v[104:107]// 000000004CA8: D3D70068 1DA24974
	v_mfma_i32_16x16x32_i8 v[104:107], a[118:119], a[38:39], v[104:107]// 000000004CB0: D3D70068 1DA24D76
	v_mfma_i32_16x16x32_i8 v[116:119], a[120:121], a[32:33], v[116:119]// 000000004CB8: D3D70074 1DD24178
	v_mfma_i32_16x16x32_i8 v[116:119], a[122:123], a[34:35], v[116:119]// 000000004CC0: D3D70074 1DD2457A
	buffer_load_dwordx4 a[100:103], v50, s[84:87], 0 offen offset:1024// 000000004CC8: E05C1400 80956432
	v_mfma_i32_16x16x32_i8 v[116:119], a[124:125], a[36:37], v[116:119]// 000000004CD0: D3D70074 1DD2497C
	v_mfma_i32_16x16x32_i8 v[116:119], a[126:127], a[38:39], v[116:119]// 000000004CD8: D3D70074 1DD24D7E
	v_mfma_i32_16x16x32_i8 v[128:131], a[128:129], a[32:33], v[128:131]// 000000004CE0: D3D70080 1E024180
	v_mfma_i32_16x16x32_i8 v[128:131], a[130:131], a[34:35], v[128:131]// 000000004CE8: D3D70080 1E024582
	buffer_load_dwordx4 a[104:107], v51, s[84:87], 0 offen     // 000000004CF0: E05C1000 80956833
	v_mfma_i32_16x16x32_i8 v[128:131], a[132:133], a[36:37], v[128:131]// 000000004CF8: D3D70080 1E024984
	v_mfma_i32_16x16x32_i8 v[128:131], a[134:135], a[38:39], v[128:131]// 000000004D00: D3D70080 1E024D86
	v_mfma_i32_16x16x32_i8 v[140:143], a[136:137], a[32:33], v[140:143]// 000000004D08: D3D7008C 1E324188
	v_mfma_i32_16x16x32_i8 v[140:143], a[138:139], a[34:35], v[140:143]// 000000004D10: D3D7008C 1E32458A
	buffer_load_dwordx4 a[108:111], v51, s[84:87], 0 offen offset:1024// 000000004D18: E05C1400 80956C33
	v_mfma_i32_16x16x32_i8 v[140:143], a[140:141], a[36:37], v[140:143]// 000000004D20: D3D7008C 1E32498C
	v_mfma_i32_16x16x32_i8 v[140:143], a[142:143], a[38:39], v[140:143]// 000000004D28: D3D7008C 1E324D8E
	v_mfma_i32_16x16x32_i8 v[108:111], a[112:113], a[40:41], v[108:111]// 000000004D30: D3D7006C 1DB25170
	v_mfma_i32_16x16x32_i8 v[108:111], a[114:115], a[42:43], v[108:111]// 000000004D38: D3D7006C 1DB25572
	v_mfma_i32_16x16x32_i8 v[108:111], a[116:117], a[44:45], v[108:111]// 000000004D40: D3D7006C 1DB25974
	v_mfma_i32_16x16x32_i8 v[108:111], a[118:119], a[46:47], v[108:111]// 000000004D48: D3D7006C 1DB25D76
	v_mfma_i32_16x16x32_i8 v[120:123], a[120:121], a[40:41], v[120:123]// 000000004D50: D3D70078 1DE25178
	v_mfma_i32_16x16x32_i8 v[120:123], a[122:123], a[42:43], v[120:123]// 000000004D58: D3D70078 1DE2557A
	v_mfma_i32_16x16x32_i8 v[120:123], a[124:125], a[44:45], v[120:123]// 000000004D60: D3D70078 1DE2597C
	v_mfma_i32_16x16x32_i8 v[120:123], a[126:127], a[46:47], v[120:123]// 000000004D68: D3D70078 1DE25D7E
	v_mfma_i32_16x16x32_i8 v[132:135], a[128:129], a[40:41], v[132:135]// 000000004D70: D3D70084 1E125180
	s_add_u32 s60, 0x180, s80                                  // 000000004D78: 803C50FF 00000180
	s_cmp_lt_u32 s60, s81                                      // 000000004D80: BF0A513C
	s_cselect_b32 s57, s57, 0                                  // 000000004D84: 85398039
	v_mfma_i32_16x16x32_i8 v[132:135], a[130:131], a[42:43], v[132:135]// 000000004D88: D3D70084 1E125582
	s_add_u32 s60, 0x100, s80                                  // 000000004D90: 803C50FF 00000100
	s_cmp_lt_u32 s60, s81                                      // 000000004D98: BF0A513C
	s_cselect_b32 s58, s58, 0                                  // 000000004D9C: 853A803A
	v_mfma_i32_16x16x32_i8 v[132:135], a[132:133], a[44:45], v[132:135]// 000000004DA0: D3D70084 1E125984
	s_add_u32 s60, 0x100, s80                                  // 000000004DA8: 803C50FF 00000100
	s_cmp_lt_u32 s60, s81                                      // 000000004DB0: BF0A513C
	s_cselect_b32 s83, s83, 0                                  // 000000004DB4: 85538053
	v_mfma_i32_16x16x32_i8 v[132:135], a[134:135], a[46:47], v[132:135]// 000000004DB8: D3D70084 1E125D86
	s_add_u32 s24, s58, s24                                    // 000000004DC0: 8018183A
	s_addc_u32 s25, 0, s25                                     // 000000004DC4: 82191980
	v_mfma_i32_16x16x32_i8 v[144:147], a[136:137], a[40:41], v[144:147]// 000000004DC8: D3D70090 1E425188
	s_add_u32 s20, s57, s20                                    // 000000004DD0: 80141439
	s_addc_u32 s21, 0, s21                                     // 000000004DD4: 82151580
	v_mfma_i32_16x16x32_i8 v[144:147], a[138:139], a[42:43], v[144:147]// 000000004DD8: D3D70090 1E42558A
	s_add_u32 s84, s83, s84                                    // 000000004DE0: 80545453
	s_addc_u32 s85, 0, s85                                     // 000000004DE4: 82555580
	v_mfma_i32_16x16x32_i8 v[144:147], a[140:141], a[44:45], v[144:147]// 000000004DE8: D3D70090 1E42598C
	v_mfma_i32_16x16x32_i8 v[144:147], a[142:143], a[46:47], v[144:147]// 000000004DF0: D3D70090 1E425D8E
	s_addk_i32 s80, 0x80                                       // 000000004DF8: B7500080
	s_cmp_lt_i32 s80, s81                                      // 000000004DFC: BF045150
	s_cbranch_scc0 label_0902                                  // 000000004E00: BF840001
	s_branch label_025F                                        // 000000004E04: BF82F95D

0000000000004e08 <label_0902>:
	v_cvt_f32_i32_e32 v52, v52                                 // 000000004E08: 7E680B34
	v_cvt_f32_i32_e32 v53, v53                                 // 000000004E0C: 7E6A0B35
	v_cvt_f32_i32_e32 v54, v54                                 // 000000004E10: 7E6C0B36
	v_cvt_f32_i32_e32 v55, v55                                 // 000000004E14: 7E6E0B37
	v_mul_f32_dpp v52, v24, v52 row_newbcast:0 row_mask:0xf bank_mask:0xf// 000000004E18: 0A6868FA FF015018
	v_mul_f32_dpp v53, v24, v53 row_newbcast:1 row_mask:0xf bank_mask:0xf// 000000004E20: 0A6A6AFA FF015118
	v_mul_f32_dpp v54, v24, v54 row_newbcast:2 row_mask:0xf bank_mask:0xf// 000000004E28: 0A6C6CFA FF015218
	v_mul_f32_dpp v55, v24, v55 row_newbcast:3 row_mask:0xf bank_mask:0xf// 000000004E30: 0A6E6EFA FF015318
	v_cvt_f32_i32_e32 v56, v56                                 // 000000004E38: 7E700B38
	v_cvt_f32_i32_e32 v57, v57                                 // 000000004E3C: 7E720B39
	v_cvt_f32_i32_e32 v58, v58                                 // 000000004E40: 7E740B3A
	v_cvt_f32_i32_e32 v59, v59                                 // 000000004E44: 7E760B3B
	v_mul_f32_dpp v56, v24, v56 row_newbcast:0 row_mask:0xf bank_mask:0xf// 000000004E48: 0A7070FA FF015018
	v_mul_f32_dpp v57, v24, v57 row_newbcast:1 row_mask:0xf bank_mask:0xf// 000000004E50: 0A7272FA FF015118
	v_mul_f32_dpp v58, v24, v58 row_newbcast:2 row_mask:0xf bank_mask:0xf// 000000004E58: 0A7474FA FF015218
	v_mul_f32_dpp v59, v24, v59 row_newbcast:3 row_mask:0xf bank_mask:0xf// 000000004E60: 0A7676FA FF015318
	v_cvt_f32_i32_e32 v60, v60                                 // 000000004E68: 7E780B3C
	v_cvt_f32_i32_e32 v61, v61                                 // 000000004E6C: 7E7A0B3D
	v_cvt_f32_i32_e32 v62, v62                                 // 000000004E70: 7E7C0B3E
	v_cvt_f32_i32_e32 v63, v63                                 // 000000004E74: 7E7E0B3F
	v_mul_f32_dpp v60, v24, v60 row_newbcast:0 row_mask:0xf bank_mask:0xf// 000000004E78: 0A7878FA FF015018
	v_mul_f32_dpp v61, v24, v61 row_newbcast:1 row_mask:0xf bank_mask:0xf// 000000004E80: 0A7A7AFA FF015118
	v_mul_f32_dpp v62, v24, v62 row_newbcast:2 row_mask:0xf bank_mask:0xf// 000000004E88: 0A7C7CFA FF015218
	v_mul_f32_dpp v63, v24, v63 row_newbcast:3 row_mask:0xf bank_mask:0xf// 000000004E90: 0A7E7EFA FF015318
	v_cvt_f32_i32_e32 v64, v64                                 // 000000004E98: 7E800B40
	v_cvt_f32_i32_e32 v65, v65                                 // 000000004E9C: 7E820B41
	v_cvt_f32_i32_e32 v66, v66                                 // 000000004EA0: 7E840B42
	v_cvt_f32_i32_e32 v67, v67                                 // 000000004EA4: 7E860B43
	v_mul_f32_dpp v64, v24, v64 row_newbcast:4 row_mask:0xf bank_mask:0xf// 000000004EA8: 0A8080FA FF015418
	v_mul_f32_dpp v65, v24, v65 row_newbcast:5 row_mask:0xf bank_mask:0xf// 000000004EB0: 0A8282FA FF015518
	v_mul_f32_dpp v66, v24, v66 row_newbcast:6 row_mask:0xf bank_mask:0xf// 000000004EB8: 0A8484FA FF015618
	v_mul_f32_dpp v67, v24, v67 row_newbcast:7 row_mask:0xf bank_mask:0xf// 000000004EC0: 0A8686FA FF015718
	v_cvt_f32_i32_e32 v68, v68                                 // 000000004EC8: 7E880B44
	v_cvt_f32_i32_e32 v69, v69                                 // 000000004ECC: 7E8A0B45
	v_cvt_f32_i32_e32 v70, v70                                 // 000000004ED0: 7E8C0B46
	v_cvt_f32_i32_e32 v71, v71                                 // 000000004ED4: 7E8E0B47
	v_mul_f32_dpp v68, v24, v68 row_newbcast:4 row_mask:0xf bank_mask:0xf// 000000004ED8: 0A8888FA FF015418
	v_mul_f32_dpp v69, v24, v69 row_newbcast:5 row_mask:0xf bank_mask:0xf// 000000004EE0: 0A8A8AFA FF015518
	v_mul_f32_dpp v70, v24, v70 row_newbcast:6 row_mask:0xf bank_mask:0xf// 000000004EE8: 0A8C8CFA FF015618
	v_mul_f32_dpp v71, v24, v71 row_newbcast:7 row_mask:0xf bank_mask:0xf// 000000004EF0: 0A8E8EFA FF015718
	v_cvt_f32_i32_e32 v72, v72                                 // 000000004EF8: 7E900B48
	v_cvt_f32_i32_e32 v73, v73                                 // 000000004EFC: 7E920B49
	v_cvt_f32_i32_e32 v74, v74                                 // 000000004F00: 7E940B4A
	v_cvt_f32_i32_e32 v75, v75                                 // 000000004F04: 7E960B4B
	v_mul_f32_dpp v72, v24, v72 row_newbcast:4 row_mask:0xf bank_mask:0xf// 000000004F08: 0A9090FA FF015418
	v_mul_f32_dpp v73, v24, v73 row_newbcast:5 row_mask:0xf bank_mask:0xf// 000000004F10: 0A9292FA FF015518
	v_mul_f32_dpp v74, v24, v74 row_newbcast:6 row_mask:0xf bank_mask:0xf// 000000004F18: 0A9494FA FF015618
	v_mul_f32_dpp v75, v24, v75 row_newbcast:7 row_mask:0xf bank_mask:0xf// 000000004F20: 0A9696FA FF015718
	v_cvt_f32_i32_e32 v76, v76                                 // 000000004F28: 7E980B4C
	v_cvt_f32_i32_e32 v77, v77                                 // 000000004F2C: 7E9A0B4D
	v_cvt_f32_i32_e32 v78, v78                                 // 000000004F30: 7E9C0B4E
	v_cvt_f32_i32_e32 v79, v79                                 // 000000004F34: 7E9E0B4F
	v_mul_f32_dpp v76, v24, v76 row_newbcast:8 row_mask:0xf bank_mask:0xf// 000000004F38: 0A9898FA FF015818
	v_mul_f32_dpp v77, v24, v77 row_newbcast:9 row_mask:0xf bank_mask:0xf// 000000004F40: 0A9A9AFA FF015918
	v_mul_f32_dpp v78, v24, v78 row_newbcast:10 row_mask:0xf bank_mask:0xf// 000000004F48: 0A9C9CFA FF015A18
	v_mul_f32_dpp v79, v24, v79 row_newbcast:11 row_mask:0xf bank_mask:0xf// 000000004F50: 0A9E9EFA FF015B18
	v_cvt_f32_i32_e32 v80, v80                                 // 000000004F58: 7EA00B50
	v_cvt_f32_i32_e32 v81, v81                                 // 000000004F5C: 7EA20B51
	v_cvt_f32_i32_e32 v82, v82                                 // 000000004F60: 7EA40B52
	v_cvt_f32_i32_e32 v83, v83                                 // 000000004F64: 7EA60B53
	v_mul_f32_dpp v80, v24, v80 row_newbcast:8 row_mask:0xf bank_mask:0xf// 000000004F68: 0AA0A0FA FF015818
	v_mul_f32_dpp v81, v24, v81 row_newbcast:9 row_mask:0xf bank_mask:0xf// 000000004F70: 0AA2A2FA FF015918
	v_mul_f32_dpp v82, v24, v82 row_newbcast:10 row_mask:0xf bank_mask:0xf// 000000004F78: 0AA4A4FA FF015A18
	v_mul_f32_dpp v83, v24, v83 row_newbcast:11 row_mask:0xf bank_mask:0xf// 000000004F80: 0AA6A6FA FF015B18
	v_cvt_f32_i32_e32 v84, v84                                 // 000000004F88: 7EA80B54
	v_cvt_f32_i32_e32 v85, v85                                 // 000000004F8C: 7EAA0B55
	v_cvt_f32_i32_e32 v86, v86                                 // 000000004F90: 7EAC0B56
	v_cvt_f32_i32_e32 v87, v87                                 // 000000004F94: 7EAE0B57
	v_mul_f32_dpp v84, v24, v84 row_newbcast:8 row_mask:0xf bank_mask:0xf// 000000004F98: 0AA8A8FA FF015818
	v_mul_f32_dpp v85, v24, v85 row_newbcast:9 row_mask:0xf bank_mask:0xf// 000000004FA0: 0AAAAAFA FF015918
	v_mul_f32_dpp v86, v24, v86 row_newbcast:10 row_mask:0xf bank_mask:0xf// 000000004FA8: 0AACACFA FF015A18
	v_mul_f32_dpp v87, v24, v87 row_newbcast:11 row_mask:0xf bank_mask:0xf// 000000004FB0: 0AAEAEFA FF015B18
	v_cvt_f32_i32_e32 v88, v88                                 // 000000004FB8: 7EB00B58
	v_cvt_f32_i32_e32 v89, v89                                 // 000000004FBC: 7EB20B59
	v_cvt_f32_i32_e32 v90, v90                                 // 000000004FC0: 7EB40B5A
	v_cvt_f32_i32_e32 v91, v91                                 // 000000004FC4: 7EB60B5B
	v_mul_f32_dpp v88, v24, v88 row_newbcast:12 row_mask:0xf bank_mask:0xf// 000000004FC8: 0AB0B0FA FF015C18
	v_mul_f32_dpp v89, v24, v89 row_newbcast:13 row_mask:0xf bank_mask:0xf// 000000004FD0: 0AB2B2FA FF015D18
	v_mul_f32_dpp v90, v24, v90 row_newbcast:14 row_mask:0xf bank_mask:0xf// 000000004FD8: 0AB4B4FA FF015E18
	v_mul_f32_dpp v91, v24, v91 row_newbcast:15 row_mask:0xf bank_mask:0xf// 000000004FE0: 0AB6B6FA FF015F18
	v_cvt_f32_i32_e32 v92, v92                                 // 000000004FE8: 7EB80B5C
	v_cvt_f32_i32_e32 v93, v93                                 // 000000004FEC: 7EBA0B5D
	v_cvt_f32_i32_e32 v94, v94                                 // 000000004FF0: 7EBC0B5E
	v_cvt_f32_i32_e32 v95, v95                                 // 000000004FF4: 7EBE0B5F
	v_mul_f32_dpp v92, v24, v92 row_newbcast:12 row_mask:0xf bank_mask:0xf// 000000004FF8: 0AB8B8FA FF015C18
	v_mul_f32_dpp v93, v24, v93 row_newbcast:13 row_mask:0xf bank_mask:0xf// 000000005000: 0ABABAFA FF015D18
	v_mul_f32_dpp v94, v24, v94 row_newbcast:14 row_mask:0xf bank_mask:0xf// 000000005008: 0ABCBCFA FF015E18
	v_mul_f32_dpp v95, v24, v95 row_newbcast:15 row_mask:0xf bank_mask:0xf// 000000005010: 0ABEBEFA FF015F18
	v_cvt_f32_i32_e32 v96, v96                                 // 000000005018: 7EC00B60
	v_cvt_f32_i32_e32 v97, v97                                 // 00000000501C: 7EC20B61
	v_cvt_f32_i32_e32 v98, v98                                 // 000000005020: 7EC40B62
	v_cvt_f32_i32_e32 v99, v99                                 // 000000005024: 7EC60B63
	v_mul_f32_dpp v96, v24, v96 row_newbcast:12 row_mask:0xf bank_mask:0xf// 000000005028: 0AC0C0FA FF015C18
	v_mul_f32_dpp v97, v24, v97 row_newbcast:13 row_mask:0xf bank_mask:0xf// 000000005030: 0AC2C2FA FF015D18
	v_mul_f32_dpp v98, v24, v98 row_newbcast:14 row_mask:0xf bank_mask:0xf// 000000005038: 0AC4C4FA FF015E18
	v_mul_f32_dpp v99, v24, v99 row_newbcast:15 row_mask:0xf bank_mask:0xf// 000000005040: 0AC6C6FA FF015F18
	v_cvt_f32_i32_e32 v100, v100                               // 000000005048: 7EC80B64
	v_cvt_f32_i32_e32 v101, v101                               // 00000000504C: 7ECA0B65
	v_cvt_f32_i32_e32 v102, v102                               // 000000005050: 7ECC0B66
	v_cvt_f32_i32_e32 v103, v103                               // 000000005054: 7ECE0B67
	v_mul_f32_dpp v100, v27, v100 row_newbcast:0 row_mask:0xf bank_mask:0xf// 000000005058: 0AC8C8FA FF01501B
	v_mul_f32_dpp v101, v27, v101 row_newbcast:1 row_mask:0xf bank_mask:0xf// 000000005060: 0ACACAFA FF01511B
	v_mul_f32_dpp v102, v27, v102 row_newbcast:2 row_mask:0xf bank_mask:0xf// 000000005068: 0ACCCCFA FF01521B
	v_mul_f32_dpp v103, v27, v103 row_newbcast:3 row_mask:0xf bank_mask:0xf// 000000005070: 0ACECEFA FF01531B
	v_cvt_f32_i32_e32 v104, v104                               // 000000005078: 7ED00B68
	v_cvt_f32_i32_e32 v105, v105                               // 00000000507C: 7ED20B69
	v_cvt_f32_i32_e32 v106, v106                               // 000000005080: 7ED40B6A
	v_cvt_f32_i32_e32 v107, v107                               // 000000005084: 7ED60B6B
	v_mul_f32_dpp v104, v27, v104 row_newbcast:0 row_mask:0xf bank_mask:0xf// 000000005088: 0AD0D0FA FF01501B
	v_mul_f32_dpp v105, v27, v105 row_newbcast:1 row_mask:0xf bank_mask:0xf// 000000005090: 0AD2D2FA FF01511B
	v_mul_f32_dpp v106, v27, v106 row_newbcast:2 row_mask:0xf bank_mask:0xf// 000000005098: 0AD4D4FA FF01521B
	v_mul_f32_dpp v107, v27, v107 row_newbcast:3 row_mask:0xf bank_mask:0xf// 0000000050A0: 0AD6D6FA FF01531B
	v_cvt_f32_i32_e32 v108, v108                               // 0000000050A8: 7ED80B6C
	v_cvt_f32_i32_e32 v109, v109                               // 0000000050AC: 7EDA0B6D
	v_cvt_f32_i32_e32 v110, v110                               // 0000000050B0: 7EDC0B6E
	v_cvt_f32_i32_e32 v111, v111                               // 0000000050B4: 7EDE0B6F
	v_mul_f32_dpp v108, v27, v108 row_newbcast:0 row_mask:0xf bank_mask:0xf// 0000000050B8: 0AD8D8FA FF01501B
	v_mul_f32_dpp v109, v27, v109 row_newbcast:1 row_mask:0xf bank_mask:0xf// 0000000050C0: 0ADADAFA FF01511B
	v_mul_f32_dpp v110, v27, v110 row_newbcast:2 row_mask:0xf bank_mask:0xf// 0000000050C8: 0ADCDCFA FF01521B
	v_mul_f32_dpp v111, v27, v111 row_newbcast:3 row_mask:0xf bank_mask:0xf// 0000000050D0: 0ADEDEFA FF01531B
	v_cvt_f32_i32_e32 v112, v112                               // 0000000050D8: 7EE00B70
	v_cvt_f32_i32_e32 v113, v113                               // 0000000050DC: 7EE20B71
	v_cvt_f32_i32_e32 v114, v114                               // 0000000050E0: 7EE40B72
	v_cvt_f32_i32_e32 v115, v115                               // 0000000050E4: 7EE60B73
	v_mul_f32_dpp v112, v27, v112 row_newbcast:4 row_mask:0xf bank_mask:0xf// 0000000050E8: 0AE0E0FA FF01541B
	v_mul_f32_dpp v113, v27, v113 row_newbcast:5 row_mask:0xf bank_mask:0xf// 0000000050F0: 0AE2E2FA FF01551B
	v_mul_f32_dpp v114, v27, v114 row_newbcast:6 row_mask:0xf bank_mask:0xf// 0000000050F8: 0AE4E4FA FF01561B
	v_mul_f32_dpp v115, v27, v115 row_newbcast:7 row_mask:0xf bank_mask:0xf// 000000005100: 0AE6E6FA FF01571B
	v_cvt_f32_i32_e32 v116, v116                               // 000000005108: 7EE80B74
	v_cvt_f32_i32_e32 v117, v117                               // 00000000510C: 7EEA0B75
	v_cvt_f32_i32_e32 v118, v118                               // 000000005110: 7EEC0B76
	v_cvt_f32_i32_e32 v119, v119                               // 000000005114: 7EEE0B77
	v_mul_f32_dpp v116, v27, v116 row_newbcast:4 row_mask:0xf bank_mask:0xf// 000000005118: 0AE8E8FA FF01541B
	v_mul_f32_dpp v117, v27, v117 row_newbcast:5 row_mask:0xf bank_mask:0xf// 000000005120: 0AEAEAFA FF01551B
	v_mul_f32_dpp v118, v27, v118 row_newbcast:6 row_mask:0xf bank_mask:0xf// 000000005128: 0AECECFA FF01561B
	v_mul_f32_dpp v119, v27, v119 row_newbcast:7 row_mask:0xf bank_mask:0xf// 000000005130: 0AEEEEFA FF01571B
	v_cvt_f32_i32_e32 v120, v120                               // 000000005138: 7EF00B78
	v_cvt_f32_i32_e32 v121, v121                               // 00000000513C: 7EF20B79
	v_cvt_f32_i32_e32 v122, v122                               // 000000005140: 7EF40B7A
	v_cvt_f32_i32_e32 v123, v123                               // 000000005144: 7EF60B7B
	v_mul_f32_dpp v120, v27, v120 row_newbcast:4 row_mask:0xf bank_mask:0xf// 000000005148: 0AF0F0FA FF01541B
	v_mul_f32_dpp v121, v27, v121 row_newbcast:5 row_mask:0xf bank_mask:0xf// 000000005150: 0AF2F2FA FF01551B
	v_mul_f32_dpp v122, v27, v122 row_newbcast:6 row_mask:0xf bank_mask:0xf// 000000005158: 0AF4F4FA FF01561B
	v_mul_f32_dpp v123, v27, v123 row_newbcast:7 row_mask:0xf bank_mask:0xf// 000000005160: 0AF6F6FA FF01571B
	v_cvt_f32_i32_e32 v124, v124                               // 000000005168: 7EF80B7C
	v_cvt_f32_i32_e32 v125, v125                               // 00000000516C: 7EFA0B7D
	v_cvt_f32_i32_e32 v126, v126                               // 000000005170: 7EFC0B7E
	v_cvt_f32_i32_e32 v127, v127                               // 000000005174: 7EFE0B7F
	v_mul_f32_dpp v124, v27, v124 row_newbcast:8 row_mask:0xf bank_mask:0xf// 000000005178: 0AF8F8FA FF01581B
	v_mul_f32_dpp v125, v27, v125 row_newbcast:9 row_mask:0xf bank_mask:0xf// 000000005180: 0AFAFAFA FF01591B
	v_mul_f32_dpp v126, v27, v126 row_newbcast:10 row_mask:0xf bank_mask:0xf// 000000005188: 0AFCFCFA FF015A1B
	v_mul_f32_dpp v127, v27, v127 row_newbcast:11 row_mask:0xf bank_mask:0xf// 000000005190: 0AFEFEFA FF015B1B
	v_cvt_f32_i32_e32 v128, v128                               // 000000005198: 7F000B80
	v_cvt_f32_i32_e32 v129, v129                               // 00000000519C: 7F020B81
	v_cvt_f32_i32_e32 v130, v130                               // 0000000051A0: 7F040B82
	v_cvt_f32_i32_e32 v131, v131                               // 0000000051A4: 7F060B83
	v_mul_f32_dpp v128, v27, v128 row_newbcast:8 row_mask:0xf bank_mask:0xf// 0000000051A8: 0B0100FA FF01581B
	v_mul_f32_dpp v129, v27, v129 row_newbcast:9 row_mask:0xf bank_mask:0xf// 0000000051B0: 0B0302FA FF01591B
	v_mul_f32_dpp v130, v27, v130 row_newbcast:10 row_mask:0xf bank_mask:0xf// 0000000051B8: 0B0504FA FF015A1B
	v_mul_f32_dpp v131, v27, v131 row_newbcast:11 row_mask:0xf bank_mask:0xf// 0000000051C0: 0B0706FA FF015B1B
	v_cvt_f32_i32_e32 v132, v132                               // 0000000051C8: 7F080B84
	v_cvt_f32_i32_e32 v133, v133                               // 0000000051CC: 7F0A0B85
	v_cvt_f32_i32_e32 v134, v134                               // 0000000051D0: 7F0C0B86
	v_cvt_f32_i32_e32 v135, v135                               // 0000000051D4: 7F0E0B87
	v_mul_f32_dpp v132, v27, v132 row_newbcast:8 row_mask:0xf bank_mask:0xf// 0000000051D8: 0B0908FA FF01581B
	v_mul_f32_dpp v133, v27, v133 row_newbcast:9 row_mask:0xf bank_mask:0xf// 0000000051E0: 0B0B0AFA FF01591B
	v_mul_f32_dpp v134, v27, v134 row_newbcast:10 row_mask:0xf bank_mask:0xf// 0000000051E8: 0B0D0CFA FF015A1B
	v_mul_f32_dpp v135, v27, v135 row_newbcast:11 row_mask:0xf bank_mask:0xf// 0000000051F0: 0B0F0EFA FF015B1B
	v_cvt_f32_i32_e32 v136, v136                               // 0000000051F8: 7F100B88
	v_cvt_f32_i32_e32 v137, v137                               // 0000000051FC: 7F120B89
	v_cvt_f32_i32_e32 v138, v138                               // 000000005200: 7F140B8A
	v_cvt_f32_i32_e32 v139, v139                               // 000000005204: 7F160B8B
	v_mul_f32_dpp v136, v27, v136 row_newbcast:12 row_mask:0xf bank_mask:0xf// 000000005208: 0B1110FA FF015C1B
	v_mul_f32_dpp v137, v27, v137 row_newbcast:13 row_mask:0xf bank_mask:0xf// 000000005210: 0B1312FA FF015D1B
	v_mul_f32_dpp v138, v27, v138 row_newbcast:14 row_mask:0xf bank_mask:0xf// 000000005218: 0B1514FA FF015E1B
	v_mul_f32_dpp v139, v27, v139 row_newbcast:15 row_mask:0xf bank_mask:0xf// 000000005220: 0B1716FA FF015F1B
	v_cvt_f32_i32_e32 v140, v140                               // 000000005228: 7F180B8C
	v_cvt_f32_i32_e32 v141, v141                               // 00000000522C: 7F1A0B8D
	v_cvt_f32_i32_e32 v142, v142                               // 000000005230: 7F1C0B8E
	v_cvt_f32_i32_e32 v143, v143                               // 000000005234: 7F1E0B8F
	v_mul_f32_dpp v140, v27, v140 row_newbcast:12 row_mask:0xf bank_mask:0xf// 000000005238: 0B1918FA FF015C1B
	v_mul_f32_dpp v141, v27, v141 row_newbcast:13 row_mask:0xf bank_mask:0xf// 000000005240: 0B1B1AFA FF015D1B
	v_mul_f32_dpp v142, v27, v142 row_newbcast:14 row_mask:0xf bank_mask:0xf// 000000005248: 0B1D1CFA FF015E1B
	v_mul_f32_dpp v143, v27, v143 row_newbcast:15 row_mask:0xf bank_mask:0xf// 000000005250: 0B1F1EFA FF015F1B
	v_cvt_f32_i32_e32 v144, v144                               // 000000005258: 7F200B90
	v_cvt_f32_i32_e32 v145, v145                               // 00000000525C: 7F220B91
	v_cvt_f32_i32_e32 v146, v146                               // 000000005260: 7F240B92
	v_cvt_f32_i32_e32 v147, v147                               // 000000005264: 7F260B93
	v_mul_f32_dpp v144, v27, v144 row_newbcast:12 row_mask:0xf bank_mask:0xf// 000000005268: 0B2120FA FF015C1B
	v_mul_f32_dpp v145, v27, v145 row_newbcast:13 row_mask:0xf bank_mask:0xf// 000000005270: 0B2322FA FF015D1B
	v_mul_f32_dpp v146, v27, v146 row_newbcast:14 row_mask:0xf bank_mask:0xf// 000000005278: 0B2524FA FF015E1B
	v_mul_f32_dpp v147, v27, v147 row_newbcast:15 row_mask:0xf bank_mask:0xf// 000000005280: 0B2726FA FF015F1B
	v_mov_b32_e32 v4, v33                                      // 000000005288: 7E080321
	v_mov_b32_e32 v5, v4                                       // 00000000528C: 7E0A0304
	v_pk_mul_f32 v[52:53], v[4:5], v[52:53]                    // 000000005290: D3B14034 18026904
	v_pk_mul_f32 v[100:101], v[4:5], v[100:101]                // 000000005298: D3B14064 1802C904
	v_pk_mul_f32 v[54:55], v[4:5], v[54:55]                    // 0000000052A0: D3B14036 18026D04
	v_pk_mul_f32 v[102:103], v[4:5], v[102:103]                // 0000000052A8: D3B14066 1802CD04
	v_pk_mul_f32 v[64:65], v[4:5], v[64:65]                    // 0000000052B0: D3B14040 18028104
	v_pk_mul_f32 v[112:113], v[4:5], v[112:113]                // 0000000052B8: D3B14070 1802E104
	v_pk_mul_f32 v[66:67], v[4:5], v[66:67]                    // 0000000052C0: D3B14042 18028504
	v_pk_mul_f32 v[114:115], v[4:5], v[114:115]                // 0000000052C8: D3B14072 1802E504
	v_pk_mul_f32 v[76:77], v[4:5], v[76:77]                    // 0000000052D0: D3B1404C 18029904
	v_pk_mul_f32 v[124:125], v[4:5], v[124:125]                // 0000000052D8: D3B1407C 1802F904
	v_pk_mul_f32 v[78:79], v[4:5], v[78:79]                    // 0000000052E0: D3B1404E 18029D04
	v_pk_mul_f32 v[126:127], v[4:5], v[126:127]                // 0000000052E8: D3B1407E 1802FD04
	v_pk_mul_f32 v[88:89], v[4:5], v[88:89]                    // 0000000052F0: D3B14058 1802B104
	v_pk_mul_f32 v[136:137], v[4:5], v[136:137]                // 0000000052F8: D3B14088 18031104
	v_pk_mul_f32 v[90:91], v[4:5], v[90:91]                    // 000000005300: D3B1405A 1802B504
	v_pk_mul_f32 v[138:139], v[4:5], v[138:139]                // 000000005308: D3B1408A 18031504
	v_mov_b32_e32 v4, v34                                      // 000000005310: 7E080322
	v_mov_b32_e32 v5, v4                                       // 000000005314: 7E0A0304
	v_pk_mul_f32 v[56:57], v[4:5], v[56:57]                    // 000000005318: D3B14038 18027104
	v_pk_mul_f32 v[104:105], v[4:5], v[104:105]                // 000000005320: D3B14068 1802D104
	v_pk_mul_f32 v[58:59], v[4:5], v[58:59]                    // 000000005328: D3B1403A 18027504
	v_pk_mul_f32 v[106:107], v[4:5], v[106:107]                // 000000005330: D3B1406A 1802D504
	v_pk_mul_f32 v[68:69], v[4:5], v[68:69]                    // 000000005338: D3B14044 18028904
	v_pk_mul_f32 v[116:117], v[4:5], v[116:117]                // 000000005340: D3B14074 1802E904
	v_pk_mul_f32 v[70:71], v[4:5], v[70:71]                    // 000000005348: D3B14046 18028D04
	v_pk_mul_f32 v[118:119], v[4:5], v[118:119]                // 000000005350: D3B14076 1802ED04
	v_pk_mul_f32 v[80:81], v[4:5], v[80:81]                    // 000000005358: D3B14050 1802A104
	v_pk_mul_f32 v[128:129], v[4:5], v[128:129]                // 000000005360: D3B14080 18030104
	v_pk_mul_f32 v[82:83], v[4:5], v[82:83]                    // 000000005368: D3B14052 1802A504
	v_pk_mul_f32 v[130:131], v[4:5], v[130:131]                // 000000005370: D3B14082 18030504
	v_pk_mul_f32 v[92:93], v[4:5], v[92:93]                    // 000000005378: D3B1405C 1802B904
	v_pk_mul_f32 v[140:141], v[4:5], v[140:141]                // 000000005380: D3B1408C 18031904
	v_pk_mul_f32 v[94:95], v[4:5], v[94:95]                    // 000000005388: D3B1405E 1802BD04
	v_pk_mul_f32 v[142:143], v[4:5], v[142:143]                // 000000005390: D3B1408E 18031D04
	v_mov_b32_e32 v4, v35                                      // 000000005398: 7E080323
	v_mov_b32_e32 v5, v4                                       // 00000000539C: 7E0A0304
	v_pk_mul_f32 v[60:61], v[4:5], v[60:61]                    // 0000000053A0: D3B1403C 18027904
	v_pk_mul_f32 v[108:109], v[4:5], v[108:109]                // 0000000053A8: D3B1406C 1802D904
	v_pk_mul_f32 v[62:63], v[4:5], v[62:63]                    // 0000000053B0: D3B1403E 18027D04
	v_pk_mul_f32 v[110:111], v[4:5], v[110:111]                // 0000000053B8: D3B1406E 1802DD04
	v_pk_mul_f32 v[72:73], v[4:5], v[72:73]                    // 0000000053C0: D3B14048 18029104
	v_pk_mul_f32 v[120:121], v[4:5], v[120:121]                // 0000000053C8: D3B14078 1802F104
	v_pk_mul_f32 v[74:75], v[4:5], v[74:75]                    // 0000000053D0: D3B1404A 18029504
	v_pk_mul_f32 v[122:123], v[4:5], v[122:123]                // 0000000053D8: D3B1407A 1802F504
	v_pk_mul_f32 v[84:85], v[4:5], v[84:85]                    // 0000000053E0: D3B14054 1802A904
	v_pk_mul_f32 v[132:133], v[4:5], v[132:133]                // 0000000053E8: D3B14084 18030904
	v_pk_mul_f32 v[86:87], v[4:5], v[86:87]                    // 0000000053F0: D3B14056 1802AD04
	v_pk_mul_f32 v[134:135], v[4:5], v[134:135]                // 0000000053F8: D3B14086 18030D04
	v_pk_mul_f32 v[96:97], v[4:5], v[96:97]                    // 000000005400: D3B14060 1802C104
	v_pk_mul_f32 v[144:145], v[4:5], v[144:145]                // 000000005408: D3B14090 18032104
	v_pk_mul_f32 v[98:99], v[4:5], v[98:99]                    // 000000005410: D3B14062 1802C504
	v_pk_mul_f32 v[146:147], v[4:5], v[146:147]                // 000000005418: D3B14092 18032504
	s_cmp_eq_u32 s88, 0                                        // 000000005420: BF068058
	s_cbranch_scc0 label_10B7                                  // 000000005424: BF84062D
	s_cmp_eq_u32 s89, 0                                        // 000000005428: BF068059
	s_cbranch_scc1 label_0C71                                  // 00000000542C: BF8501E5
	v_mov_b32_e32 v8, v1                                       // 000000005430: 7E100301
	v_mov_b32_e32 v9, v1                                       // 000000005434: 7E120301
	s_mov_b32 s60, s6                                          // 000000005438: BEBC0006
	s_mov_b32 s61, s6                                          // 00000000543C: BEBD0006
	v_pk_mul_f32 v[4:5], v[52:53], v[52:53]                    // 000000005440: D3B14004 18026934
	v_pk_mul_f32 v[6:7], v[54:55], v[54:55]                    // 000000005448: D3B14006 18026D36
	v_pk_fma_f32 v[4:5], v[4:5], s[78:79], v[8:9]              // 000000005450: D3B04004 1C209D04
	v_pk_fma_f32 v[6:7], v[6:7], s[78:79], v[8:9]              // 000000005458: D3B04006 1C209D06
	v_pk_mul_f32 v[4:5], v[4:5], v[52:53]                      // 000000005460: D3B14004 18026904
	v_pk_mul_f32 v[6:7], v[6:7], v[54:55]                      // 000000005468: D3B14006 18026D06
	v_pk_mul_f32 v[4:5], v[4:5], s[60:61]                      // 000000005470: D3B14004 18007904
	v_pk_mul_f32 v[6:7], v[6:7], s[60:61]                      // 000000005478: D3B14006 18007906
	v_exp_f32_e32 v4, v4                                       // 000000005480: 7E084104
	v_exp_f32_e32 v5, v5                                       // 000000005484: 7E0A4105
	v_exp_f32_e32 v6, v6                                       // 000000005488: 7E0C4106
	v_exp_f32_e32 v7, v7                                       // 00000000548C: 7E0E4107
	v_add_f32_e64 v4, v4, 1.0                                  // 000000005490: D1010004 0001E504
	v_add_f32_e64 v5, v5, 1.0                                  // 000000005498: D1010005 0001E505
	v_add_f32_e64 v6, v6, 1.0                                  // 0000000054A0: D1010006 0001E506
	v_add_f32_e64 v7, v7, 1.0                                  // 0000000054A8: D1010007 0001E507
	v_rcp_f32_e32 v4, v4                                       // 0000000054B0: 7E084504
	v_rcp_f32_e32 v5, v5                                       // 0000000054B4: 7E0A4505
	v_rcp_f32_e32 v6, v6                                       // 0000000054B8: 7E0C4506
	v_rcp_f32_e32 v7, v7                                       // 0000000054BC: 7E0E4507
	v_mul_f32_e32 v52, v52, v4                                 // 0000000054C0: 0A680934
	v_mul_f32_e32 v53, v53, v5                                 // 0000000054C4: 0A6A0B35
	v_mul_f32_e32 v54, v54, v6                                 // 0000000054C8: 0A6C0D36
	v_mul_f32_e32 v55, v55, v7                                 // 0000000054CC: 0A6E0F37
	v_mul_f32_e32 v52, v52, v100                               // 0000000054D0: 0A68C934
	v_mul_f32_e32 v53, v53, v101                               // 0000000054D4: 0A6ACB35
	v_mul_f32_e32 v54, v54, v102                               // 0000000054D8: 0A6CCD36
	v_mul_f32_e32 v55, v55, v103                               // 0000000054DC: 0A6ECF37
	v_pk_mul_f32 v[4:5], v[56:57], v[56:57]                    // 0000000054E0: D3B14004 18027138
	v_pk_mul_f32 v[6:7], v[58:59], v[58:59]                    // 0000000054E8: D3B14006 1802753A
	v_pk_fma_f32 v[4:5], v[4:5], s[78:79], v[8:9]              // 0000000054F0: D3B04004 1C209D04
	v_pk_fma_f32 v[6:7], v[6:7], s[78:79], v[8:9]              // 0000000054F8: D3B04006 1C209D06
	v_pk_mul_f32 v[4:5], v[4:5], v[56:57]                      // 000000005500: D3B14004 18027104
	v_pk_mul_f32 v[6:7], v[6:7], v[58:59]                      // 000000005508: D3B14006 18027506
	v_pk_mul_f32 v[4:5], v[4:5], s[60:61]                      // 000000005510: D3B14004 18007904
	v_pk_mul_f32 v[6:7], v[6:7], s[60:61]                      // 000000005518: D3B14006 18007906
	v_exp_f32_e32 v4, v4                                       // 000000005520: 7E084104
	v_exp_f32_e32 v5, v5                                       // 000000005524: 7E0A4105
	v_exp_f32_e32 v6, v6                                       // 000000005528: 7E0C4106
	v_exp_f32_e32 v7, v7                                       // 00000000552C: 7E0E4107
	v_add_f32_e64 v4, v4, 1.0                                  // 000000005530: D1010004 0001E504
	v_add_f32_e64 v5, v5, 1.0                                  // 000000005538: D1010005 0001E505
	v_add_f32_e64 v6, v6, 1.0                                  // 000000005540: D1010006 0001E506
	v_add_f32_e64 v7, v7, 1.0                                  // 000000005548: D1010007 0001E507
	v_rcp_f32_e32 v4, v4                                       // 000000005550: 7E084504
	v_rcp_f32_e32 v5, v5                                       // 000000005554: 7E0A4505
	v_rcp_f32_e32 v6, v6                                       // 000000005558: 7E0C4506
	v_rcp_f32_e32 v7, v7                                       // 00000000555C: 7E0E4507
	v_mul_f32_e32 v56, v56, v4                                 // 000000005560: 0A700938
	v_mul_f32_e32 v57, v57, v5                                 // 000000005564: 0A720B39
	v_mul_f32_e32 v58, v58, v6                                 // 000000005568: 0A740D3A
	v_mul_f32_e32 v59, v59, v7                                 // 00000000556C: 0A760F3B
	v_mul_f32_e32 v56, v56, v104                               // 000000005570: 0A70D138
	v_mul_f32_e32 v57, v57, v105                               // 000000005574: 0A72D339
	v_mul_f32_e32 v58, v58, v106                               // 000000005578: 0A74D53A
	v_mul_f32_e32 v59, v59, v107                               // 00000000557C: 0A76D73B
	v_pk_mul_f32 v[4:5], v[60:61], v[60:61]                    // 000000005580: D3B14004 1802793C
	v_pk_mul_f32 v[6:7], v[62:63], v[62:63]                    // 000000005588: D3B14006 18027D3E
	v_pk_fma_f32 v[4:5], v[4:5], s[78:79], v[8:9]              // 000000005590: D3B04004 1C209D04
	v_pk_fma_f32 v[6:7], v[6:7], s[78:79], v[8:9]              // 000000005598: D3B04006 1C209D06
	v_pk_mul_f32 v[4:5], v[4:5], v[60:61]                      // 0000000055A0: D3B14004 18027904
	v_pk_mul_f32 v[6:7], v[6:7], v[62:63]                      // 0000000055A8: D3B14006 18027D06
	v_pk_mul_f32 v[4:5], v[4:5], s[60:61]                      // 0000000055B0: D3B14004 18007904
	v_pk_mul_f32 v[6:7], v[6:7], s[60:61]                      // 0000000055B8: D3B14006 18007906
	v_exp_f32_e32 v4, v4                                       // 0000000055C0: 7E084104
	v_exp_f32_e32 v5, v5                                       // 0000000055C4: 7E0A4105
	v_exp_f32_e32 v6, v6                                       // 0000000055C8: 7E0C4106
	v_exp_f32_e32 v7, v7                                       // 0000000055CC: 7E0E4107
	v_add_f32_e64 v4, v4, 1.0                                  // 0000000055D0: D1010004 0001E504
	v_add_f32_e64 v5, v5, 1.0                                  // 0000000055D8: D1010005 0001E505
	v_add_f32_e64 v6, v6, 1.0                                  // 0000000055E0: D1010006 0001E506
	v_add_f32_e64 v7, v7, 1.0                                  // 0000000055E8: D1010007 0001E507
	v_rcp_f32_e32 v4, v4                                       // 0000000055F0: 7E084504
	v_rcp_f32_e32 v5, v5                                       // 0000000055F4: 7E0A4505
	v_rcp_f32_e32 v6, v6                                       // 0000000055F8: 7E0C4506
	v_rcp_f32_e32 v7, v7                                       // 0000000055FC: 7E0E4507
	v_mul_f32_e32 v60, v60, v4                                 // 000000005600: 0A78093C
	v_mul_f32_e32 v61, v61, v5                                 // 000000005604: 0A7A0B3D
	v_mul_f32_e32 v62, v62, v6                                 // 000000005608: 0A7C0D3E
	v_mul_f32_e32 v63, v63, v7                                 // 00000000560C: 0A7E0F3F
	v_mul_f32_e32 v60, v60, v108                               // 000000005610: 0A78D93C
	v_mul_f32_e32 v61, v61, v109                               // 000000005614: 0A7ADB3D
	v_mul_f32_e32 v62, v62, v110                               // 000000005618: 0A7CDD3E
	v_mul_f32_e32 v63, v63, v111                               // 00000000561C: 0A7EDF3F
	v_pk_mul_f32 v[4:5], v[64:65], v[64:65]                    // 000000005620: D3B14004 18028140
	v_pk_mul_f32 v[6:7], v[66:67], v[66:67]                    // 000000005628: D3B14006 18028542
	v_pk_fma_f32 v[4:5], v[4:5], s[78:79], v[8:9]              // 000000005630: D3B04004 1C209D04
	v_pk_fma_f32 v[6:7], v[6:7], s[78:79], v[8:9]              // 000000005638: D3B04006 1C209D06
	v_pk_mul_f32 v[4:5], v[4:5], v[64:65]                      // 000000005640: D3B14004 18028104
	v_pk_mul_f32 v[6:7], v[6:7], v[66:67]                      // 000000005648: D3B14006 18028506
	v_pk_mul_f32 v[4:5], v[4:5], s[60:61]                      // 000000005650: D3B14004 18007904
	v_pk_mul_f32 v[6:7], v[6:7], s[60:61]                      // 000000005658: D3B14006 18007906
	v_exp_f32_e32 v4, v4                                       // 000000005660: 7E084104
	v_exp_f32_e32 v5, v5                                       // 000000005664: 7E0A4105
	v_exp_f32_e32 v6, v6                                       // 000000005668: 7E0C4106
	v_exp_f32_e32 v7, v7                                       // 00000000566C: 7E0E4107
	v_add_f32_e64 v4, v4, 1.0                                  // 000000005670: D1010004 0001E504
	v_add_f32_e64 v5, v5, 1.0                                  // 000000005678: D1010005 0001E505
	v_add_f32_e64 v6, v6, 1.0                                  // 000000005680: D1010006 0001E506
	v_add_f32_e64 v7, v7, 1.0                                  // 000000005688: D1010007 0001E507
	v_rcp_f32_e32 v4, v4                                       // 000000005690: 7E084504
	v_rcp_f32_e32 v5, v5                                       // 000000005694: 7E0A4505
	v_rcp_f32_e32 v6, v6                                       // 000000005698: 7E0C4506
	v_rcp_f32_e32 v7, v7                                       // 00000000569C: 7E0E4507
	v_mul_f32_e32 v64, v64, v4                                 // 0000000056A0: 0A800940
	v_mul_f32_e32 v65, v65, v5                                 // 0000000056A4: 0A820B41
	v_mul_f32_e32 v66, v66, v6                                 // 0000000056A8: 0A840D42
	v_mul_f32_e32 v67, v67, v7                                 // 0000000056AC: 0A860F43
	v_mul_f32_e32 v64, v64, v112                               // 0000000056B0: 0A80E140
	v_mul_f32_e32 v65, v65, v113                               // 0000000056B4: 0A82E341
	v_mul_f32_e32 v66, v66, v114                               // 0000000056B8: 0A84E542
	v_mul_f32_e32 v67, v67, v115                               // 0000000056BC: 0A86E743
	v_pk_mul_f32 v[4:5], v[68:69], v[68:69]                    // 0000000056C0: D3B14004 18028944
	v_pk_mul_f32 v[6:7], v[70:71], v[70:71]                    // 0000000056C8: D3B14006 18028D46
	v_pk_fma_f32 v[4:5], v[4:5], s[78:79], v[8:9]              // 0000000056D0: D3B04004 1C209D04
	v_pk_fma_f32 v[6:7], v[6:7], s[78:79], v[8:9]              // 0000000056D8: D3B04006 1C209D06
	v_pk_mul_f32 v[4:5], v[4:5], v[68:69]                      // 0000000056E0: D3B14004 18028904
	v_pk_mul_f32 v[6:7], v[6:7], v[70:71]                      // 0000000056E8: D3B14006 18028D06
	v_pk_mul_f32 v[4:5], v[4:5], s[60:61]                      // 0000000056F0: D3B14004 18007904
	v_pk_mul_f32 v[6:7], v[6:7], s[60:61]                      // 0000000056F8: D3B14006 18007906
	v_exp_f32_e32 v4, v4                                       // 000000005700: 7E084104
	v_exp_f32_e32 v5, v5                                       // 000000005704: 7E0A4105
	v_exp_f32_e32 v6, v6                                       // 000000005708: 7E0C4106
	v_exp_f32_e32 v7, v7                                       // 00000000570C: 7E0E4107
	v_add_f32_e64 v4, v4, 1.0                                  // 000000005710: D1010004 0001E504
	v_add_f32_e64 v5, v5, 1.0                                  // 000000005718: D1010005 0001E505
	v_add_f32_e64 v6, v6, 1.0                                  // 000000005720: D1010006 0001E506
	v_add_f32_e64 v7, v7, 1.0                                  // 000000005728: D1010007 0001E507
	v_rcp_f32_e32 v4, v4                                       // 000000005730: 7E084504
	v_rcp_f32_e32 v5, v5                                       // 000000005734: 7E0A4505
	v_rcp_f32_e32 v6, v6                                       // 000000005738: 7E0C4506
	v_rcp_f32_e32 v7, v7                                       // 00000000573C: 7E0E4507
	v_mul_f32_e32 v68, v68, v4                                 // 000000005740: 0A880944
	v_mul_f32_e32 v69, v69, v5                                 // 000000005744: 0A8A0B45
	v_mul_f32_e32 v70, v70, v6                                 // 000000005748: 0A8C0D46
	v_mul_f32_e32 v71, v71, v7                                 // 00000000574C: 0A8E0F47
	v_mul_f32_e32 v68, v68, v116                               // 000000005750: 0A88E944
	v_mul_f32_e32 v69, v69, v117                               // 000000005754: 0A8AEB45
	v_mul_f32_e32 v70, v70, v118                               // 000000005758: 0A8CED46
	v_mul_f32_e32 v71, v71, v119                               // 00000000575C: 0A8EEF47
	v_pk_mul_f32 v[4:5], v[72:73], v[72:73]                    // 000000005760: D3B14004 18029148
	v_pk_mul_f32 v[6:7], v[74:75], v[74:75]                    // 000000005768: D3B14006 1802954A
	v_pk_fma_f32 v[4:5], v[4:5], s[78:79], v[8:9]              // 000000005770: D3B04004 1C209D04
	v_pk_fma_f32 v[6:7], v[6:7], s[78:79], v[8:9]              // 000000005778: D3B04006 1C209D06
	v_pk_mul_f32 v[4:5], v[4:5], v[72:73]                      // 000000005780: D3B14004 18029104
	v_pk_mul_f32 v[6:7], v[6:7], v[74:75]                      // 000000005788: D3B14006 18029506
	v_pk_mul_f32 v[4:5], v[4:5], s[60:61]                      // 000000005790: D3B14004 18007904
	v_pk_mul_f32 v[6:7], v[6:7], s[60:61]                      // 000000005798: D3B14006 18007906
	v_exp_f32_e32 v4, v4                                       // 0000000057A0: 7E084104
	v_exp_f32_e32 v5, v5                                       // 0000000057A4: 7E0A4105
	v_exp_f32_e32 v6, v6                                       // 0000000057A8: 7E0C4106
	v_exp_f32_e32 v7, v7                                       // 0000000057AC: 7E0E4107
	v_add_f32_e64 v4, v4, 1.0                                  // 0000000057B0: D1010004 0001E504
	v_add_f32_e64 v5, v5, 1.0                                  // 0000000057B8: D1010005 0001E505
	v_add_f32_e64 v6, v6, 1.0                                  // 0000000057C0: D1010006 0001E506
	v_add_f32_e64 v7, v7, 1.0                                  // 0000000057C8: D1010007 0001E507
	v_rcp_f32_e32 v4, v4                                       // 0000000057D0: 7E084504
	v_rcp_f32_e32 v5, v5                                       // 0000000057D4: 7E0A4505
	v_rcp_f32_e32 v6, v6                                       // 0000000057D8: 7E0C4506
	v_rcp_f32_e32 v7, v7                                       // 0000000057DC: 7E0E4507
	v_mul_f32_e32 v72, v72, v4                                 // 0000000057E0: 0A900948
	v_mul_f32_e32 v73, v73, v5                                 // 0000000057E4: 0A920B49
	v_mul_f32_e32 v74, v74, v6                                 // 0000000057E8: 0A940D4A
	v_mul_f32_e32 v75, v75, v7                                 // 0000000057EC: 0A960F4B
	v_mul_f32_e32 v72, v72, v120                               // 0000000057F0: 0A90F148
	v_mul_f32_e32 v73, v73, v121                               // 0000000057F4: 0A92F349
	v_mul_f32_e32 v74, v74, v122                               // 0000000057F8: 0A94F54A
	v_mul_f32_e32 v75, v75, v123                               // 0000000057FC: 0A96F74B
	v_pk_mul_f32 v[4:5], v[76:77], v[76:77]                    // 000000005800: D3B14004 1802994C
	v_pk_mul_f32 v[6:7], v[78:79], v[78:79]                    // 000000005808: D3B14006 18029D4E
	v_pk_fma_f32 v[4:5], v[4:5], s[78:79], v[8:9]              // 000000005810: D3B04004 1C209D04
	v_pk_fma_f32 v[6:7], v[6:7], s[78:79], v[8:9]              // 000000005818: D3B04006 1C209D06
	v_pk_mul_f32 v[4:5], v[4:5], v[76:77]                      // 000000005820: D3B14004 18029904
	v_pk_mul_f32 v[6:7], v[6:7], v[78:79]                      // 000000005828: D3B14006 18029D06
	v_pk_mul_f32 v[4:5], v[4:5], s[60:61]                      // 000000005830: D3B14004 18007904
	v_pk_mul_f32 v[6:7], v[6:7], s[60:61]                      // 000000005838: D3B14006 18007906
	v_exp_f32_e32 v4, v4                                       // 000000005840: 7E084104
	v_exp_f32_e32 v5, v5                                       // 000000005844: 7E0A4105
	v_exp_f32_e32 v6, v6                                       // 000000005848: 7E0C4106
	v_exp_f32_e32 v7, v7                                       // 00000000584C: 7E0E4107
	v_add_f32_e64 v4, v4, 1.0                                  // 000000005850: D1010004 0001E504
	v_add_f32_e64 v5, v5, 1.0                                  // 000000005858: D1010005 0001E505
	v_add_f32_e64 v6, v6, 1.0                                  // 000000005860: D1010006 0001E506
	v_add_f32_e64 v7, v7, 1.0                                  // 000000005868: D1010007 0001E507
	v_rcp_f32_e32 v4, v4                                       // 000000005870: 7E084504
	v_rcp_f32_e32 v5, v5                                       // 000000005874: 7E0A4505
	v_rcp_f32_e32 v6, v6                                       // 000000005878: 7E0C4506
	v_rcp_f32_e32 v7, v7                                       // 00000000587C: 7E0E4507
	v_mul_f32_e32 v76, v76, v4                                 // 000000005880: 0A98094C
	v_mul_f32_e32 v77, v77, v5                                 // 000000005884: 0A9A0B4D
	v_mul_f32_e32 v78, v78, v6                                 // 000000005888: 0A9C0D4E
	v_mul_f32_e32 v79, v79, v7                                 // 00000000588C: 0A9E0F4F
	v_mul_f32_e32 v76, v76, v124                               // 000000005890: 0A98F94C
	v_mul_f32_e32 v77, v77, v125                               // 000000005894: 0A9AFB4D
	v_mul_f32_e32 v78, v78, v126                               // 000000005898: 0A9CFD4E
	v_mul_f32_e32 v79, v79, v127                               // 00000000589C: 0A9EFF4F
	v_pk_mul_f32 v[4:5], v[80:81], v[80:81]                    // 0000000058A0: D3B14004 1802A150
	v_pk_mul_f32 v[6:7], v[82:83], v[82:83]                    // 0000000058A8: D3B14006 1802A552
	v_pk_fma_f32 v[4:5], v[4:5], s[78:79], v[8:9]              // 0000000058B0: D3B04004 1C209D04
	v_pk_fma_f32 v[6:7], v[6:7], s[78:79], v[8:9]              // 0000000058B8: D3B04006 1C209D06
	v_pk_mul_f32 v[4:5], v[4:5], v[80:81]                      // 0000000058C0: D3B14004 1802A104
	v_pk_mul_f32 v[6:7], v[6:7], v[82:83]                      // 0000000058C8: D3B14006 1802A506
	v_pk_mul_f32 v[4:5], v[4:5], s[60:61]                      // 0000000058D0: D3B14004 18007904
	v_pk_mul_f32 v[6:7], v[6:7], s[60:61]                      // 0000000058D8: D3B14006 18007906
	v_exp_f32_e32 v4, v4                                       // 0000000058E0: 7E084104
	v_exp_f32_e32 v5, v5                                       // 0000000058E4: 7E0A4105
	v_exp_f32_e32 v6, v6                                       // 0000000058E8: 7E0C4106
	v_exp_f32_e32 v7, v7                                       // 0000000058EC: 7E0E4107
	v_add_f32_e64 v4, v4, 1.0                                  // 0000000058F0: D1010004 0001E504
	v_add_f32_e64 v5, v5, 1.0                                  // 0000000058F8: D1010005 0001E505
	v_add_f32_e64 v6, v6, 1.0                                  // 000000005900: D1010006 0001E506
	v_add_f32_e64 v7, v7, 1.0                                  // 000000005908: D1010007 0001E507
	v_rcp_f32_e32 v4, v4                                       // 000000005910: 7E084504
	v_rcp_f32_e32 v5, v5                                       // 000000005914: 7E0A4505
	v_rcp_f32_e32 v6, v6                                       // 000000005918: 7E0C4506
	v_rcp_f32_e32 v7, v7                                       // 00000000591C: 7E0E4507
	v_mul_f32_e32 v80, v80, v4                                 // 000000005920: 0AA00950
	v_mul_f32_e32 v81, v81, v5                                 // 000000005924: 0AA20B51
	v_mul_f32_e32 v82, v82, v6                                 // 000000005928: 0AA40D52
	v_mul_f32_e32 v83, v83, v7                                 // 00000000592C: 0AA60F53
	v_mul_f32_e32 v80, v80, v128                               // 000000005930: 0AA10150
	v_mul_f32_e32 v81, v81, v129                               // 000000005934: 0AA30351
	v_mul_f32_e32 v82, v82, v130                               // 000000005938: 0AA50552
	v_mul_f32_e32 v83, v83, v131                               // 00000000593C: 0AA70753
	v_pk_mul_f32 v[4:5], v[84:85], v[84:85]                    // 000000005940: D3B14004 1802A954
	v_pk_mul_f32 v[6:7], v[86:87], v[86:87]                    // 000000005948: D3B14006 1802AD56
	v_pk_fma_f32 v[4:5], v[4:5], s[78:79], v[8:9]              // 000000005950: D3B04004 1C209D04
	v_pk_fma_f32 v[6:7], v[6:7], s[78:79], v[8:9]              // 000000005958: D3B04006 1C209D06
	v_pk_mul_f32 v[4:5], v[4:5], v[84:85]                      // 000000005960: D3B14004 1802A904
	v_pk_mul_f32 v[6:7], v[6:7], v[86:87]                      // 000000005968: D3B14006 1802AD06
	v_pk_mul_f32 v[4:5], v[4:5], s[60:61]                      // 000000005970: D3B14004 18007904
	v_pk_mul_f32 v[6:7], v[6:7], s[60:61]                      // 000000005978: D3B14006 18007906
	v_exp_f32_e32 v4, v4                                       // 000000005980: 7E084104
	v_exp_f32_e32 v5, v5                                       // 000000005984: 7E0A4105
	v_exp_f32_e32 v6, v6                                       // 000000005988: 7E0C4106
	v_exp_f32_e32 v7, v7                                       // 00000000598C: 7E0E4107
	v_add_f32_e64 v4, v4, 1.0                                  // 000000005990: D1010004 0001E504
	v_add_f32_e64 v5, v5, 1.0                                  // 000000005998: D1010005 0001E505
	v_add_f32_e64 v6, v6, 1.0                                  // 0000000059A0: D1010006 0001E506
	v_add_f32_e64 v7, v7, 1.0                                  // 0000000059A8: D1010007 0001E507
	v_rcp_f32_e32 v4, v4                                       // 0000000059B0: 7E084504
	v_rcp_f32_e32 v5, v5                                       // 0000000059B4: 7E0A4505
	v_rcp_f32_e32 v6, v6                                       // 0000000059B8: 7E0C4506
	v_rcp_f32_e32 v7, v7                                       // 0000000059BC: 7E0E4507
	v_mul_f32_e32 v84, v84, v4                                 // 0000000059C0: 0AA80954
	v_mul_f32_e32 v85, v85, v5                                 // 0000000059C4: 0AAA0B55
	v_mul_f32_e32 v86, v86, v6                                 // 0000000059C8: 0AAC0D56
	v_mul_f32_e32 v87, v87, v7                                 // 0000000059CC: 0AAE0F57
	v_mul_f32_e32 v84, v84, v132                               // 0000000059D0: 0AA90954
	v_mul_f32_e32 v85, v85, v133                               // 0000000059D4: 0AAB0B55
	v_mul_f32_e32 v86, v86, v134                               // 0000000059D8: 0AAD0D56
	v_mul_f32_e32 v87, v87, v135                               // 0000000059DC: 0AAF0F57
	v_pk_mul_f32 v[4:5], v[88:89], v[88:89]                    // 0000000059E0: D3B14004 1802B158
	v_pk_mul_f32 v[6:7], v[90:91], v[90:91]                    // 0000000059E8: D3B14006 1802B55A
	v_pk_fma_f32 v[4:5], v[4:5], s[78:79], v[8:9]              // 0000000059F0: D3B04004 1C209D04
	v_pk_fma_f32 v[6:7], v[6:7], s[78:79], v[8:9]              // 0000000059F8: D3B04006 1C209D06
	v_pk_mul_f32 v[4:5], v[4:5], v[88:89]                      // 000000005A00: D3B14004 1802B104
	v_pk_mul_f32 v[6:7], v[6:7], v[90:91]                      // 000000005A08: D3B14006 1802B506
	v_pk_mul_f32 v[4:5], v[4:5], s[60:61]                      // 000000005A10: D3B14004 18007904
	v_pk_mul_f32 v[6:7], v[6:7], s[60:61]                      // 000000005A18: D3B14006 18007906
	v_exp_f32_e32 v4, v4                                       // 000000005A20: 7E084104
	v_exp_f32_e32 v5, v5                                       // 000000005A24: 7E0A4105
	v_exp_f32_e32 v6, v6                                       // 000000005A28: 7E0C4106
	v_exp_f32_e32 v7, v7                                       // 000000005A2C: 7E0E4107
	v_add_f32_e64 v4, v4, 1.0                                  // 000000005A30: D1010004 0001E504
	v_add_f32_e64 v5, v5, 1.0                                  // 000000005A38: D1010005 0001E505
	v_add_f32_e64 v6, v6, 1.0                                  // 000000005A40: D1010006 0001E506
	v_add_f32_e64 v7, v7, 1.0                                  // 000000005A48: D1010007 0001E507
	v_rcp_f32_e32 v4, v4                                       // 000000005A50: 7E084504
	v_rcp_f32_e32 v5, v5                                       // 000000005A54: 7E0A4505
	v_rcp_f32_e32 v6, v6                                       // 000000005A58: 7E0C4506
	v_rcp_f32_e32 v7, v7                                       // 000000005A5C: 7E0E4507
	v_mul_f32_e32 v88, v88, v4                                 // 000000005A60: 0AB00958
	v_mul_f32_e32 v89, v89, v5                                 // 000000005A64: 0AB20B59
	v_mul_f32_e32 v90, v90, v6                                 // 000000005A68: 0AB40D5A
	v_mul_f32_e32 v91, v91, v7                                 // 000000005A6C: 0AB60F5B
	v_mul_f32_e32 v88, v88, v136                               // 000000005A70: 0AB11158
	v_mul_f32_e32 v89, v89, v137                               // 000000005A74: 0AB31359
	v_mul_f32_e32 v90, v90, v138                               // 000000005A78: 0AB5155A
	v_mul_f32_e32 v91, v91, v139                               // 000000005A7C: 0AB7175B
	v_pk_mul_f32 v[4:5], v[92:93], v[92:93]                    // 000000005A80: D3B14004 1802B95C
	v_pk_mul_f32 v[6:7], v[94:95], v[94:95]                    // 000000005A88: D3B14006 1802BD5E
	v_pk_fma_f32 v[4:5], v[4:5], s[78:79], v[8:9]              // 000000005A90: D3B04004 1C209D04
	v_pk_fma_f32 v[6:7], v[6:7], s[78:79], v[8:9]              // 000000005A98: D3B04006 1C209D06
	v_pk_mul_f32 v[4:5], v[4:5], v[92:93]                      // 000000005AA0: D3B14004 1802B904
	v_pk_mul_f32 v[6:7], v[6:7], v[94:95]                      // 000000005AA8: D3B14006 1802BD06
	v_pk_mul_f32 v[4:5], v[4:5], s[60:61]                      // 000000005AB0: D3B14004 18007904
	v_pk_mul_f32 v[6:7], v[6:7], s[60:61]                      // 000000005AB8: D3B14006 18007906
	v_exp_f32_e32 v4, v4                                       // 000000005AC0: 7E084104
	v_exp_f32_e32 v5, v5                                       // 000000005AC4: 7E0A4105
	v_exp_f32_e32 v6, v6                                       // 000000005AC8: 7E0C4106
	v_exp_f32_e32 v7, v7                                       // 000000005ACC: 7E0E4107
	v_add_f32_e64 v4, v4, 1.0                                  // 000000005AD0: D1010004 0001E504
	v_add_f32_e64 v5, v5, 1.0                                  // 000000005AD8: D1010005 0001E505
	v_add_f32_e64 v6, v6, 1.0                                  // 000000005AE0: D1010006 0001E506
	v_add_f32_e64 v7, v7, 1.0                                  // 000000005AE8: D1010007 0001E507
	v_rcp_f32_e32 v4, v4                                       // 000000005AF0: 7E084504
	v_rcp_f32_e32 v5, v5                                       // 000000005AF4: 7E0A4505
	v_rcp_f32_e32 v6, v6                                       // 000000005AF8: 7E0C4506
	v_rcp_f32_e32 v7, v7                                       // 000000005AFC: 7E0E4507
	v_mul_f32_e32 v92, v92, v4                                 // 000000005B00: 0AB8095C
	v_mul_f32_e32 v93, v93, v5                                 // 000000005B04: 0ABA0B5D
	v_mul_f32_e32 v94, v94, v6                                 // 000000005B08: 0ABC0D5E
	v_mul_f32_e32 v95, v95, v7                                 // 000000005B0C: 0ABE0F5F
	v_mul_f32_e32 v92, v92, v140                               // 000000005B10: 0AB9195C
	v_mul_f32_e32 v93, v93, v141                               // 000000005B14: 0ABB1B5D
	v_mul_f32_e32 v94, v94, v142                               // 000000005B18: 0ABD1D5E
	v_mul_f32_e32 v95, v95, v143                               // 000000005B1C: 0ABF1F5F
	v_pk_mul_f32 v[4:5], v[96:97], v[96:97]                    // 000000005B20: D3B14004 1802C160
	v_pk_mul_f32 v[6:7], v[98:99], v[98:99]                    // 000000005B28: D3B14006 1802C562
	v_pk_fma_f32 v[4:5], v[4:5], s[78:79], v[8:9]              // 000000005B30: D3B04004 1C209D04
	v_pk_fma_f32 v[6:7], v[6:7], s[78:79], v[8:9]              // 000000005B38: D3B04006 1C209D06
	v_pk_mul_f32 v[4:5], v[4:5], v[96:97]                      // 000000005B40: D3B14004 1802C104
	v_pk_mul_f32 v[6:7], v[6:7], v[98:99]                      // 000000005B48: D3B14006 1802C506
	v_pk_mul_f32 v[4:5], v[4:5], s[60:61]                      // 000000005B50: D3B14004 18007904
	v_pk_mul_f32 v[6:7], v[6:7], s[60:61]                      // 000000005B58: D3B14006 18007906
	v_exp_f32_e32 v4, v4                                       // 000000005B60: 7E084104
	v_exp_f32_e32 v5, v5                                       // 000000005B64: 7E0A4105
	v_exp_f32_e32 v6, v6                                       // 000000005B68: 7E0C4106
	v_exp_f32_e32 v7, v7                                       // 000000005B6C: 7E0E4107
	v_add_f32_e64 v4, v4, 1.0                                  // 000000005B70: D1010004 0001E504
	v_add_f32_e64 v5, v5, 1.0                                  // 000000005B78: D1010005 0001E505
	v_add_f32_e64 v6, v6, 1.0                                  // 000000005B80: D1010006 0001E506
	v_add_f32_e64 v7, v7, 1.0                                  // 000000005B88: D1010007 0001E507
	v_rcp_f32_e32 v4, v4                                       // 000000005B90: 7E084504
	v_rcp_f32_e32 v5, v5                                       // 000000005B94: 7E0A4505
	v_rcp_f32_e32 v6, v6                                       // 000000005B98: 7E0C4506
	v_rcp_f32_e32 v7, v7                                       // 000000005B9C: 7E0E4507
	v_mul_f32_e32 v96, v96, v4                                 // 000000005BA0: 0AC00960
	v_mul_f32_e32 v97, v97, v5                                 // 000000005BA4: 0AC20B61
	v_mul_f32_e32 v98, v98, v6                                 // 000000005BA8: 0AC40D62
	v_mul_f32_e32 v99, v99, v7                                 // 000000005BAC: 0AC60F63
	v_mul_f32_e32 v96, v96, v144                               // 000000005BB0: 0AC12160
	v_mul_f32_e32 v97, v97, v145                               // 000000005BB4: 0AC32361
	v_mul_f32_e32 v98, v98, v146                               // 000000005BB8: 0AC52562
	v_mul_f32_e32 v99, v99, v147                               // 000000005BBC: 0AC72763
	s_branch label_0DF1                                        // 000000005BC0: BF820180

0000000000005bc4 <label_0C71>:
	v_mul_f32_e64 v4, -v52, s6                                 // 000000005BC4: D1050004 20000D34
	v_mul_f32_e64 v5, -v53, s6                                 // 000000005BCC: D1050005 20000D35
	v_mul_f32_e64 v6, -v54, s6                                 // 000000005BD4: D1050006 20000D36
	v_mul_f32_e64 v7, -v55, s6                                 // 000000005BDC: D1050007 20000D37
	v_exp_f32_e32 v4, v4                                       // 000000005BE4: 7E084104
	v_exp_f32_e32 v5, v5                                       // 000000005BE8: 7E0A4105
	v_exp_f32_e32 v6, v6                                       // 000000005BEC: 7E0C4106
	v_exp_f32_e32 v7, v7                                       // 000000005BF0: 7E0E4107
	v_add_f32_e64 v4, v4, 1.0                                  // 000000005BF4: D1010004 0001E504
	v_add_f32_e64 v5, v5, 1.0                                  // 000000005BFC: D1010005 0001E505
	v_add_f32_e64 v6, v6, 1.0                                  // 000000005C04: D1010006 0001E506
	v_add_f32_e64 v7, v7, 1.0                                  // 000000005C0C: D1010007 0001E507
	v_rcp_f32_e32 v4, v4                                       // 000000005C14: 7E084504
	v_rcp_f32_e32 v5, v5                                       // 000000005C18: 7E0A4505
	v_rcp_f32_e32 v6, v6                                       // 000000005C1C: 7E0C4506
	v_rcp_f32_e32 v7, v7                                       // 000000005C20: 7E0E4507
	v_mul_f32_e32 v52, v52, v4                                 // 000000005C24: 0A680934
	v_mul_f32_e32 v53, v53, v5                                 // 000000005C28: 0A6A0B35
	v_mul_f32_e32 v54, v54, v6                                 // 000000005C2C: 0A6C0D36
	v_mul_f32_e32 v55, v55, v7                                 // 000000005C30: 0A6E0F37
	v_mul_f32_e32 v52, v52, v100                               // 000000005C34: 0A68C934
	v_mul_f32_e32 v53, v53, v101                               // 000000005C38: 0A6ACB35
	v_mul_f32_e32 v54, v54, v102                               // 000000005C3C: 0A6CCD36
	v_mul_f32_e32 v55, v55, v103                               // 000000005C40: 0A6ECF37
	v_mul_f32_e64 v4, -v56, s6                                 // 000000005C44: D1050004 20000D38
	v_mul_f32_e64 v5, -v57, s6                                 // 000000005C4C: D1050005 20000D39
	v_mul_f32_e64 v6, -v58, s6                                 // 000000005C54: D1050006 20000D3A
	v_mul_f32_e64 v7, -v59, s6                                 // 000000005C5C: D1050007 20000D3B
	v_exp_f32_e32 v4, v4                                       // 000000005C64: 7E084104
	v_exp_f32_e32 v5, v5                                       // 000000005C68: 7E0A4105
	v_exp_f32_e32 v6, v6                                       // 000000005C6C: 7E0C4106
	v_exp_f32_e32 v7, v7                                       // 000000005C70: 7E0E4107
	v_add_f32_e64 v4, v4, 1.0                                  // 000000005C74: D1010004 0001E504
	v_add_f32_e64 v5, v5, 1.0                                  // 000000005C7C: D1010005 0001E505
	v_add_f32_e64 v6, v6, 1.0                                  // 000000005C84: D1010006 0001E506
	v_add_f32_e64 v7, v7, 1.0                                  // 000000005C8C: D1010007 0001E507
	v_rcp_f32_e32 v4, v4                                       // 000000005C94: 7E084504
	v_rcp_f32_e32 v5, v5                                       // 000000005C98: 7E0A4505
	v_rcp_f32_e32 v6, v6                                       // 000000005C9C: 7E0C4506
	v_rcp_f32_e32 v7, v7                                       // 000000005CA0: 7E0E4507
	v_mul_f32_e32 v56, v56, v4                                 // 000000005CA4: 0A700938
	v_mul_f32_e32 v57, v57, v5                                 // 000000005CA8: 0A720B39
	v_mul_f32_e32 v58, v58, v6                                 // 000000005CAC: 0A740D3A
	v_mul_f32_e32 v59, v59, v7                                 // 000000005CB0: 0A760F3B
	v_mul_f32_e32 v56, v56, v104                               // 000000005CB4: 0A70D138
	v_mul_f32_e32 v57, v57, v105                               // 000000005CB8: 0A72D339
	v_mul_f32_e32 v58, v58, v106                               // 000000005CBC: 0A74D53A
	v_mul_f32_e32 v59, v59, v107                               // 000000005CC0: 0A76D73B
	v_mul_f32_e64 v4, -v60, s6                                 // 000000005CC4: D1050004 20000D3C
	v_mul_f32_e64 v5, -v61, s6                                 // 000000005CCC: D1050005 20000D3D
	v_mul_f32_e64 v6, -v62, s6                                 // 000000005CD4: D1050006 20000D3E
	v_mul_f32_e64 v7, -v63, s6                                 // 000000005CDC: D1050007 20000D3F
	v_exp_f32_e32 v4, v4                                       // 000000005CE4: 7E084104
	v_exp_f32_e32 v5, v5                                       // 000000005CE8: 7E0A4105
	v_exp_f32_e32 v6, v6                                       // 000000005CEC: 7E0C4106
	v_exp_f32_e32 v7, v7                                       // 000000005CF0: 7E0E4107
	v_add_f32_e64 v4, v4, 1.0                                  // 000000005CF4: D1010004 0001E504
	v_add_f32_e64 v5, v5, 1.0                                  // 000000005CFC: D1010005 0001E505
	v_add_f32_e64 v6, v6, 1.0                                  // 000000005D04: D1010006 0001E506
	v_add_f32_e64 v7, v7, 1.0                                  // 000000005D0C: D1010007 0001E507
	v_rcp_f32_e32 v4, v4                                       // 000000005D14: 7E084504
	v_rcp_f32_e32 v5, v5                                       // 000000005D18: 7E0A4505
	v_rcp_f32_e32 v6, v6                                       // 000000005D1C: 7E0C4506
	v_rcp_f32_e32 v7, v7                                       // 000000005D20: 7E0E4507
	v_mul_f32_e32 v60, v60, v4                                 // 000000005D24: 0A78093C
	v_mul_f32_e32 v61, v61, v5                                 // 000000005D28: 0A7A0B3D
	v_mul_f32_e32 v62, v62, v6                                 // 000000005D2C: 0A7C0D3E
	v_mul_f32_e32 v63, v63, v7                                 // 000000005D30: 0A7E0F3F
	v_mul_f32_e32 v60, v60, v108                               // 000000005D34: 0A78D93C
	v_mul_f32_e32 v61, v61, v109                               // 000000005D38: 0A7ADB3D
	v_mul_f32_e32 v62, v62, v110                               // 000000005D3C: 0A7CDD3E
	v_mul_f32_e32 v63, v63, v111                               // 000000005D40: 0A7EDF3F
	v_mul_f32_e64 v4, -v64, s6                                 // 000000005D44: D1050004 20000D40
	v_mul_f32_e64 v5, -v65, s6                                 // 000000005D4C: D1050005 20000D41
	v_mul_f32_e64 v6, -v66, s6                                 // 000000005D54: D1050006 20000D42
	v_mul_f32_e64 v7, -v67, s6                                 // 000000005D5C: D1050007 20000D43
	v_exp_f32_e32 v4, v4                                       // 000000005D64: 7E084104
	v_exp_f32_e32 v5, v5                                       // 000000005D68: 7E0A4105
	v_exp_f32_e32 v6, v6                                       // 000000005D6C: 7E0C4106
	v_exp_f32_e32 v7, v7                                       // 000000005D70: 7E0E4107
	v_add_f32_e64 v4, v4, 1.0                                  // 000000005D74: D1010004 0001E504
	v_add_f32_e64 v5, v5, 1.0                                  // 000000005D7C: D1010005 0001E505
	v_add_f32_e64 v6, v6, 1.0                                  // 000000005D84: D1010006 0001E506
	v_add_f32_e64 v7, v7, 1.0                                  // 000000005D8C: D1010007 0001E507
	v_rcp_f32_e32 v4, v4                                       // 000000005D94: 7E084504
	v_rcp_f32_e32 v5, v5                                       // 000000005D98: 7E0A4505
	v_rcp_f32_e32 v6, v6                                       // 000000005D9C: 7E0C4506
	v_rcp_f32_e32 v7, v7                                       // 000000005DA0: 7E0E4507
	v_mul_f32_e32 v64, v64, v4                                 // 000000005DA4: 0A800940
	v_mul_f32_e32 v65, v65, v5                                 // 000000005DA8: 0A820B41
	v_mul_f32_e32 v66, v66, v6                                 // 000000005DAC: 0A840D42
	v_mul_f32_e32 v67, v67, v7                                 // 000000005DB0: 0A860F43
	v_mul_f32_e32 v64, v64, v112                               // 000000005DB4: 0A80E140
	v_mul_f32_e32 v65, v65, v113                               // 000000005DB8: 0A82E341
	v_mul_f32_e32 v66, v66, v114                               // 000000005DBC: 0A84E542
	v_mul_f32_e32 v67, v67, v115                               // 000000005DC0: 0A86E743
	v_mul_f32_e64 v4, -v68, s6                                 // 000000005DC4: D1050004 20000D44
	v_mul_f32_e64 v5, -v69, s6                                 // 000000005DCC: D1050005 20000D45
	v_mul_f32_e64 v6, -v70, s6                                 // 000000005DD4: D1050006 20000D46
	v_mul_f32_e64 v7, -v71, s6                                 // 000000005DDC: D1050007 20000D47
	v_exp_f32_e32 v4, v4                                       // 000000005DE4: 7E084104
	v_exp_f32_e32 v5, v5                                       // 000000005DE8: 7E0A4105
	v_exp_f32_e32 v6, v6                                       // 000000005DEC: 7E0C4106
	v_exp_f32_e32 v7, v7                                       // 000000005DF0: 7E0E4107
	v_add_f32_e64 v4, v4, 1.0                                  // 000000005DF4: D1010004 0001E504
	v_add_f32_e64 v5, v5, 1.0                                  // 000000005DFC: D1010005 0001E505
	v_add_f32_e64 v6, v6, 1.0                                  // 000000005E04: D1010006 0001E506
	v_add_f32_e64 v7, v7, 1.0                                  // 000000005E0C: D1010007 0001E507
	v_rcp_f32_e32 v4, v4                                       // 000000005E14: 7E084504
	v_rcp_f32_e32 v5, v5                                       // 000000005E18: 7E0A4505
	v_rcp_f32_e32 v6, v6                                       // 000000005E1C: 7E0C4506
	v_rcp_f32_e32 v7, v7                                       // 000000005E20: 7E0E4507
	v_mul_f32_e32 v68, v68, v4                                 // 000000005E24: 0A880944
	v_mul_f32_e32 v69, v69, v5                                 // 000000005E28: 0A8A0B45
	v_mul_f32_e32 v70, v70, v6                                 // 000000005E2C: 0A8C0D46
	v_mul_f32_e32 v71, v71, v7                                 // 000000005E30: 0A8E0F47
	v_mul_f32_e32 v68, v68, v116                               // 000000005E34: 0A88E944
	v_mul_f32_e32 v69, v69, v117                               // 000000005E38: 0A8AEB45
	v_mul_f32_e32 v70, v70, v118                               // 000000005E3C: 0A8CED46
	v_mul_f32_e32 v71, v71, v119                               // 000000005E40: 0A8EEF47
	v_mul_f32_e64 v4, -v72, s6                                 // 000000005E44: D1050004 20000D48
	v_mul_f32_e64 v5, -v73, s6                                 // 000000005E4C: D1050005 20000D49
	v_mul_f32_e64 v6, -v74, s6                                 // 000000005E54: D1050006 20000D4A
	v_mul_f32_e64 v7, -v75, s6                                 // 000000005E5C: D1050007 20000D4B
	v_exp_f32_e32 v4, v4                                       // 000000005E64: 7E084104
	v_exp_f32_e32 v5, v5                                       // 000000005E68: 7E0A4105
	v_exp_f32_e32 v6, v6                                       // 000000005E6C: 7E0C4106
	v_exp_f32_e32 v7, v7                                       // 000000005E70: 7E0E4107
	v_add_f32_e64 v4, v4, 1.0                                  // 000000005E74: D1010004 0001E504
	v_add_f32_e64 v5, v5, 1.0                                  // 000000005E7C: D1010005 0001E505
	v_add_f32_e64 v6, v6, 1.0                                  // 000000005E84: D1010006 0001E506
	v_add_f32_e64 v7, v7, 1.0                                  // 000000005E8C: D1010007 0001E507
	v_rcp_f32_e32 v4, v4                                       // 000000005E94: 7E084504
	v_rcp_f32_e32 v5, v5                                       // 000000005E98: 7E0A4505
	v_rcp_f32_e32 v6, v6                                       // 000000005E9C: 7E0C4506
	v_rcp_f32_e32 v7, v7                                       // 000000005EA0: 7E0E4507
	v_mul_f32_e32 v72, v72, v4                                 // 000000005EA4: 0A900948
	v_mul_f32_e32 v73, v73, v5                                 // 000000005EA8: 0A920B49
	v_mul_f32_e32 v74, v74, v6                                 // 000000005EAC: 0A940D4A
	v_mul_f32_e32 v75, v75, v7                                 // 000000005EB0: 0A960F4B
	v_mul_f32_e32 v72, v72, v120                               // 000000005EB4: 0A90F148
	v_mul_f32_e32 v73, v73, v121                               // 000000005EB8: 0A92F349
	v_mul_f32_e32 v74, v74, v122                               // 000000005EBC: 0A94F54A
	v_mul_f32_e32 v75, v75, v123                               // 000000005EC0: 0A96F74B
	v_mul_f32_e64 v4, -v76, s6                                 // 000000005EC4: D1050004 20000D4C
	v_mul_f32_e64 v5, -v77, s6                                 // 000000005ECC: D1050005 20000D4D
	v_mul_f32_e64 v6, -v78, s6                                 // 000000005ED4: D1050006 20000D4E
	v_mul_f32_e64 v7, -v79, s6                                 // 000000005EDC: D1050007 20000D4F
	v_exp_f32_e32 v4, v4                                       // 000000005EE4: 7E084104
	v_exp_f32_e32 v5, v5                                       // 000000005EE8: 7E0A4105
	v_exp_f32_e32 v6, v6                                       // 000000005EEC: 7E0C4106
	v_exp_f32_e32 v7, v7                                       // 000000005EF0: 7E0E4107
	v_add_f32_e64 v4, v4, 1.0                                  // 000000005EF4: D1010004 0001E504
	v_add_f32_e64 v5, v5, 1.0                                  // 000000005EFC: D1010005 0001E505
	v_add_f32_e64 v6, v6, 1.0                                  // 000000005F04: D1010006 0001E506
	v_add_f32_e64 v7, v7, 1.0                                  // 000000005F0C: D1010007 0001E507
	v_rcp_f32_e32 v4, v4                                       // 000000005F14: 7E084504
	v_rcp_f32_e32 v5, v5                                       // 000000005F18: 7E0A4505
	v_rcp_f32_e32 v6, v6                                       // 000000005F1C: 7E0C4506
	v_rcp_f32_e32 v7, v7                                       // 000000005F20: 7E0E4507
	v_mul_f32_e32 v76, v76, v4                                 // 000000005F24: 0A98094C
	v_mul_f32_e32 v77, v77, v5                                 // 000000005F28: 0A9A0B4D
	v_mul_f32_e32 v78, v78, v6                                 // 000000005F2C: 0A9C0D4E
	v_mul_f32_e32 v79, v79, v7                                 // 000000005F30: 0A9E0F4F
	v_mul_f32_e32 v76, v76, v124                               // 000000005F34: 0A98F94C
	v_mul_f32_e32 v77, v77, v125                               // 000000005F38: 0A9AFB4D
	v_mul_f32_e32 v78, v78, v126                               // 000000005F3C: 0A9CFD4E
	v_mul_f32_e32 v79, v79, v127                               // 000000005F40: 0A9EFF4F
	v_mul_f32_e64 v4, -v80, s6                                 // 000000005F44: D1050004 20000D50
	v_mul_f32_e64 v5, -v81, s6                                 // 000000005F4C: D1050005 20000D51
	v_mul_f32_e64 v6, -v82, s6                                 // 000000005F54: D1050006 20000D52
	v_mul_f32_e64 v7, -v83, s6                                 // 000000005F5C: D1050007 20000D53
	v_exp_f32_e32 v4, v4                                       // 000000005F64: 7E084104
	v_exp_f32_e32 v5, v5                                       // 000000005F68: 7E0A4105
	v_exp_f32_e32 v6, v6                                       // 000000005F6C: 7E0C4106
	v_exp_f32_e32 v7, v7                                       // 000000005F70: 7E0E4107
	v_add_f32_e64 v4, v4, 1.0                                  // 000000005F74: D1010004 0001E504
	v_add_f32_e64 v5, v5, 1.0                                  // 000000005F7C: D1010005 0001E505
	v_add_f32_e64 v6, v6, 1.0                                  // 000000005F84: D1010006 0001E506
	v_add_f32_e64 v7, v7, 1.0                                  // 000000005F8C: D1010007 0001E507
	v_rcp_f32_e32 v4, v4                                       // 000000005F94: 7E084504
	v_rcp_f32_e32 v5, v5                                       // 000000005F98: 7E0A4505
	v_rcp_f32_e32 v6, v6                                       // 000000005F9C: 7E0C4506
	v_rcp_f32_e32 v7, v7                                       // 000000005FA0: 7E0E4507
	v_mul_f32_e32 v80, v80, v4                                 // 000000005FA4: 0AA00950
	v_mul_f32_e32 v81, v81, v5                                 // 000000005FA8: 0AA20B51
	v_mul_f32_e32 v82, v82, v6                                 // 000000005FAC: 0AA40D52
	v_mul_f32_e32 v83, v83, v7                                 // 000000005FB0: 0AA60F53
	v_mul_f32_e32 v80, v80, v128                               // 000000005FB4: 0AA10150
	v_mul_f32_e32 v81, v81, v129                               // 000000005FB8: 0AA30351
	v_mul_f32_e32 v82, v82, v130                               // 000000005FBC: 0AA50552
	v_mul_f32_e32 v83, v83, v131                               // 000000005FC0: 0AA70753
	v_mul_f32_e64 v4, -v84, s6                                 // 000000005FC4: D1050004 20000D54
	v_mul_f32_e64 v5, -v85, s6                                 // 000000005FCC: D1050005 20000D55
	v_mul_f32_e64 v6, -v86, s6                                 // 000000005FD4: D1050006 20000D56
	v_mul_f32_e64 v7, -v87, s6                                 // 000000005FDC: D1050007 20000D57
	v_exp_f32_e32 v4, v4                                       // 000000005FE4: 7E084104
	v_exp_f32_e32 v5, v5                                       // 000000005FE8: 7E0A4105
	v_exp_f32_e32 v6, v6                                       // 000000005FEC: 7E0C4106
	v_exp_f32_e32 v7, v7                                       // 000000005FF0: 7E0E4107
	v_add_f32_e64 v4, v4, 1.0                                  // 000000005FF4: D1010004 0001E504
	v_add_f32_e64 v5, v5, 1.0                                  // 000000005FFC: D1010005 0001E505
	v_add_f32_e64 v6, v6, 1.0                                  // 000000006004: D1010006 0001E506
	v_add_f32_e64 v7, v7, 1.0                                  // 00000000600C: D1010007 0001E507
	v_rcp_f32_e32 v4, v4                                       // 000000006014: 7E084504
	v_rcp_f32_e32 v5, v5                                       // 000000006018: 7E0A4505
	v_rcp_f32_e32 v6, v6                                       // 00000000601C: 7E0C4506
	v_rcp_f32_e32 v7, v7                                       // 000000006020: 7E0E4507
	v_mul_f32_e32 v84, v84, v4                                 // 000000006024: 0AA80954
	v_mul_f32_e32 v85, v85, v5                                 // 000000006028: 0AAA0B55
	v_mul_f32_e32 v86, v86, v6                                 // 00000000602C: 0AAC0D56
	v_mul_f32_e32 v87, v87, v7                                 // 000000006030: 0AAE0F57
	v_mul_f32_e32 v84, v84, v132                               // 000000006034: 0AA90954
	v_mul_f32_e32 v85, v85, v133                               // 000000006038: 0AAB0B55
	v_mul_f32_e32 v86, v86, v134                               // 00000000603C: 0AAD0D56
	v_mul_f32_e32 v87, v87, v135                               // 000000006040: 0AAF0F57
	v_mul_f32_e64 v4, -v88, s6                                 // 000000006044: D1050004 20000D58
	v_mul_f32_e64 v5, -v89, s6                                 // 00000000604C: D1050005 20000D59
	v_mul_f32_e64 v6, -v90, s6                                 // 000000006054: D1050006 20000D5A
	v_mul_f32_e64 v7, -v91, s6                                 // 00000000605C: D1050007 20000D5B
	v_exp_f32_e32 v4, v4                                       // 000000006064: 7E084104
	v_exp_f32_e32 v5, v5                                       // 000000006068: 7E0A4105
	v_exp_f32_e32 v6, v6                                       // 00000000606C: 7E0C4106
	v_exp_f32_e32 v7, v7                                       // 000000006070: 7E0E4107
	v_add_f32_e64 v4, v4, 1.0                                  // 000000006074: D1010004 0001E504
	v_add_f32_e64 v5, v5, 1.0                                  // 00000000607C: D1010005 0001E505
	v_add_f32_e64 v6, v6, 1.0                                  // 000000006084: D1010006 0001E506
	v_add_f32_e64 v7, v7, 1.0                                  // 00000000608C: D1010007 0001E507
	v_rcp_f32_e32 v4, v4                                       // 000000006094: 7E084504
	v_rcp_f32_e32 v5, v5                                       // 000000006098: 7E0A4505
	v_rcp_f32_e32 v6, v6                                       // 00000000609C: 7E0C4506
	v_rcp_f32_e32 v7, v7                                       // 0000000060A0: 7E0E4507
	v_mul_f32_e32 v88, v88, v4                                 // 0000000060A4: 0AB00958
	v_mul_f32_e32 v89, v89, v5                                 // 0000000060A8: 0AB20B59
	v_mul_f32_e32 v90, v90, v6                                 // 0000000060AC: 0AB40D5A
	v_mul_f32_e32 v91, v91, v7                                 // 0000000060B0: 0AB60F5B
	v_mul_f32_e32 v88, v88, v136                               // 0000000060B4: 0AB11158
	v_mul_f32_e32 v89, v89, v137                               // 0000000060B8: 0AB31359
	v_mul_f32_e32 v90, v90, v138                               // 0000000060BC: 0AB5155A
	v_mul_f32_e32 v91, v91, v139                               // 0000000060C0: 0AB7175B
	v_mul_f32_e64 v4, -v92, s6                                 // 0000000060C4: D1050004 20000D5C
	v_mul_f32_e64 v5, -v93, s6                                 // 0000000060CC: D1050005 20000D5D
	v_mul_f32_e64 v6, -v94, s6                                 // 0000000060D4: D1050006 20000D5E
	v_mul_f32_e64 v7, -v95, s6                                 // 0000000060DC: D1050007 20000D5F
	v_exp_f32_e32 v4, v4                                       // 0000000060E4: 7E084104
	v_exp_f32_e32 v5, v5                                       // 0000000060E8: 7E0A4105
	v_exp_f32_e32 v6, v6                                       // 0000000060EC: 7E0C4106
	v_exp_f32_e32 v7, v7                                       // 0000000060F0: 7E0E4107
	v_add_f32_e64 v4, v4, 1.0                                  // 0000000060F4: D1010004 0001E504
	v_add_f32_e64 v5, v5, 1.0                                  // 0000000060FC: D1010005 0001E505
	v_add_f32_e64 v6, v6, 1.0                                  // 000000006104: D1010006 0001E506
	v_add_f32_e64 v7, v7, 1.0                                  // 00000000610C: D1010007 0001E507
	v_rcp_f32_e32 v4, v4                                       // 000000006114: 7E084504
	v_rcp_f32_e32 v5, v5                                       // 000000006118: 7E0A4505
	v_rcp_f32_e32 v6, v6                                       // 00000000611C: 7E0C4506
	v_rcp_f32_e32 v7, v7                                       // 000000006120: 7E0E4507
	v_mul_f32_e32 v92, v92, v4                                 // 000000006124: 0AB8095C
	v_mul_f32_e32 v93, v93, v5                                 // 000000006128: 0ABA0B5D
	v_mul_f32_e32 v94, v94, v6                                 // 00000000612C: 0ABC0D5E
	v_mul_f32_e32 v95, v95, v7                                 // 000000006130: 0ABE0F5F
	v_mul_f32_e32 v92, v92, v140                               // 000000006134: 0AB9195C
	v_mul_f32_e32 v93, v93, v141                               // 000000006138: 0ABB1B5D
	v_mul_f32_e32 v94, v94, v142                               // 00000000613C: 0ABD1D5E
	v_mul_f32_e32 v95, v95, v143                               // 000000006140: 0ABF1F5F
	v_mul_f32_e64 v4, -v96, s6                                 // 000000006144: D1050004 20000D60
	v_mul_f32_e64 v5, -v97, s6                                 // 00000000614C: D1050005 20000D61
	v_mul_f32_e64 v6, -v98, s6                                 // 000000006154: D1050006 20000D62
	v_mul_f32_e64 v7, -v99, s6                                 // 00000000615C: D1050007 20000D63
	v_exp_f32_e32 v4, v4                                       // 000000006164: 7E084104
	v_exp_f32_e32 v5, v5                                       // 000000006168: 7E0A4105
	v_exp_f32_e32 v6, v6                                       // 00000000616C: 7E0C4106
	v_exp_f32_e32 v7, v7                                       // 000000006170: 7E0E4107
	v_add_f32_e64 v4, v4, 1.0                                  // 000000006174: D1010004 0001E504
	v_add_f32_e64 v5, v5, 1.0                                  // 00000000617C: D1010005 0001E505
	v_add_f32_e64 v6, v6, 1.0                                  // 000000006184: D1010006 0001E506
	v_add_f32_e64 v7, v7, 1.0                                  // 00000000618C: D1010007 0001E507
	v_rcp_f32_e32 v4, v4                                       // 000000006194: 7E084504
	v_rcp_f32_e32 v5, v5                                       // 000000006198: 7E0A4505
	v_rcp_f32_e32 v6, v6                                       // 00000000619C: 7E0C4506
	v_rcp_f32_e32 v7, v7                                       // 0000000061A0: 7E0E4507
	v_mul_f32_e32 v96, v96, v4                                 // 0000000061A4: 0AC00960
	v_mul_f32_e32 v97, v97, v5                                 // 0000000061A8: 0AC20B61
	v_mul_f32_e32 v98, v98, v6                                 // 0000000061AC: 0AC40D62
	v_mul_f32_e32 v99, v99, v7                                 // 0000000061B0: 0AC60F63
	v_mul_f32_e32 v96, v96, v144                               // 0000000061B4: 0AC12160
	v_mul_f32_e32 v97, v97, v145                               // 0000000061B8: 0AC32361
	v_mul_f32_e32 v98, v98, v146                               // 0000000061BC: 0AC52562
	v_mul_f32_e32 v99, v99, v147                               // 0000000061C0: 0AC72763

00000000000061c4 <label_0DF1>:
	v_cmp_u_f32_e64 s[46:47], v52, v52                         // 0000000061C4: D048002E 00026934
	v_add3_u32 v16, v52, v19, 1                                // 0000000061CC: D1FF0010 02062734
	v_cndmask_b32_e64 v4, v16, v18, s[46:47]                   // 0000000061D4: D1000004 00BA2510
	v_cmp_u_f32_e64 s[46:47], v53, v53                         // 0000000061DC: D048002E 00026B35
	v_add3_u32 v16, v53, v19, 1                                // 0000000061E4: D1FF0010 02062735
	v_cndmask_b32_e64 v5, v16, v18, s[46:47]                   // 0000000061EC: D1000005 00BA2510
	v_perm_b32 v52, v5, v4, s52                                // 0000000061F4: D1ED0034 00D20905
	v_cmp_u_f32_e64 s[46:47], v54, v54                         // 0000000061FC: D048002E 00026D36
	v_add3_u32 v16, v54, v19, 1                                // 000000006204: D1FF0010 02062736
	v_cndmask_b32_e64 v4, v16, v18, s[46:47]                   // 00000000620C: D1000004 00BA2510
	v_cmp_u_f32_e64 s[46:47], v55, v55                         // 000000006214: D048002E 00026F37
	v_add3_u32 v16, v55, v19, 1                                // 00000000621C: D1FF0010 02062737
	v_cndmask_b32_e64 v5, v16, v18, s[46:47]                   // 000000006224: D1000005 00BA2510
	v_perm_b32 v53, v5, v4, s52                                // 00000000622C: D1ED0035 00D20905
	v_cmp_u_f32_e64 s[46:47], v56, v56                         // 000000006234: D048002E 00027138
	v_add3_u32 v16, v56, v19, 1                                // 00000000623C: D1FF0010 02062738
	v_cndmask_b32_e64 v4, v16, v18, s[46:47]                   // 000000006244: D1000004 00BA2510
	v_cmp_u_f32_e64 s[46:47], v57, v57                         // 00000000624C: D048002E 00027339
	v_add3_u32 v16, v57, v19, 1                                // 000000006254: D1FF0010 02062739
	v_cndmask_b32_e64 v5, v16, v18, s[46:47]                   // 00000000625C: D1000005 00BA2510
	v_perm_b32 v54, v5, v4, s52                                // 000000006264: D1ED0036 00D20905
	v_cmp_u_f32_e64 s[46:47], v58, v58                         // 00000000626C: D048002E 0002753A
	v_add3_u32 v16, v58, v19, 1                                // 000000006274: D1FF0010 0206273A
	v_cndmask_b32_e64 v4, v16, v18, s[46:47]                   // 00000000627C: D1000004 00BA2510
	v_cmp_u_f32_e64 s[46:47], v59, v59                         // 000000006284: D048002E 0002773B
	v_add3_u32 v16, v59, v19, 1                                // 00000000628C: D1FF0010 0206273B
	v_cndmask_b32_e64 v5, v16, v18, s[46:47]                   // 000000006294: D1000005 00BA2510
	v_perm_b32 v55, v5, v4, s52                                // 00000000629C: D1ED0037 00D20905
	v_cmp_u_f32_e64 s[46:47], v60, v60                         // 0000000062A4: D048002E 0002793C
	v_add3_u32 v16, v60, v19, 1                                // 0000000062AC: D1FF0010 0206273C
	v_cndmask_b32_e64 v4, v16, v18, s[46:47]                   // 0000000062B4: D1000004 00BA2510
	v_cmp_u_f32_e64 s[46:47], v61, v61                         // 0000000062BC: D048002E 00027B3D
	v_add3_u32 v16, v61, v19, 1                                // 0000000062C4: D1FF0010 0206273D
	v_cndmask_b32_e64 v5, v16, v18, s[46:47]                   // 0000000062CC: D1000005 00BA2510
	v_perm_b32 v56, v5, v4, s52                                // 0000000062D4: D1ED0038 00D20905
	v_cmp_u_f32_e64 s[46:47], v62, v62                         // 0000000062DC: D048002E 00027D3E
	v_add3_u32 v16, v62, v19, 1                                // 0000000062E4: D1FF0010 0206273E
	v_cndmask_b32_e64 v4, v16, v18, s[46:47]                   // 0000000062EC: D1000004 00BA2510
	v_cmp_u_f32_e64 s[46:47], v63, v63                         // 0000000062F4: D048002E 00027F3F
	v_add3_u32 v16, v63, v19, 1                                // 0000000062FC: D1FF0010 0206273F
	v_cndmask_b32_e64 v5, v16, v18, s[46:47]                   // 000000006304: D1000005 00BA2510
	v_perm_b32 v57, v5, v4, s52                                // 00000000630C: D1ED0039 00D20905
	v_cmp_u_f32_e64 s[46:47], v64, v64                         // 000000006314: D048002E 00028140
	v_add3_u32 v16, v64, v19, 1                                // 00000000631C: D1FF0010 02062740
	v_cndmask_b32_e64 v4, v16, v18, s[46:47]                   // 000000006324: D1000004 00BA2510
	v_cmp_u_f32_e64 s[46:47], v65, v65                         // 00000000632C: D048002E 00028341
	v_add3_u32 v16, v65, v19, 1                                // 000000006334: D1FF0010 02062741
	v_cndmask_b32_e64 v5, v16, v18, s[46:47]                   // 00000000633C: D1000005 00BA2510
	v_perm_b32 v58, v5, v4, s52                                // 000000006344: D1ED003A 00D20905
	v_cmp_u_f32_e64 s[46:47], v66, v66                         // 00000000634C: D048002E 00028542
	v_add3_u32 v16, v66, v19, 1                                // 000000006354: D1FF0010 02062742
	v_cndmask_b32_e64 v4, v16, v18, s[46:47]                   // 00000000635C: D1000004 00BA2510
	v_cmp_u_f32_e64 s[46:47], v67, v67                         // 000000006364: D048002E 00028743
	v_add3_u32 v16, v67, v19, 1                                // 00000000636C: D1FF0010 02062743
	v_cndmask_b32_e64 v5, v16, v18, s[46:47]                   // 000000006374: D1000005 00BA2510
	v_perm_b32 v59, v5, v4, s52                                // 00000000637C: D1ED003B 00D20905
	v_cmp_u_f32_e64 s[46:47], v68, v68                         // 000000006384: D048002E 00028944
	v_add3_u32 v16, v68, v19, 1                                // 00000000638C: D1FF0010 02062744
	v_cndmask_b32_e64 v4, v16, v18, s[46:47]                   // 000000006394: D1000004 00BA2510
	v_cmp_u_f32_e64 s[46:47], v69, v69                         // 00000000639C: D048002E 00028B45
	v_add3_u32 v16, v69, v19, 1                                // 0000000063A4: D1FF0010 02062745
	v_cndmask_b32_e64 v5, v16, v18, s[46:47]                   // 0000000063AC: D1000005 00BA2510
	v_perm_b32 v60, v5, v4, s52                                // 0000000063B4: D1ED003C 00D20905
	v_cmp_u_f32_e64 s[46:47], v70, v70                         // 0000000063BC: D048002E 00028D46
	v_add3_u32 v16, v70, v19, 1                                // 0000000063C4: D1FF0010 02062746
	v_cndmask_b32_e64 v4, v16, v18, s[46:47]                   // 0000000063CC: D1000004 00BA2510
	v_cmp_u_f32_e64 s[46:47], v71, v71                         // 0000000063D4: D048002E 00028F47
	v_add3_u32 v16, v71, v19, 1                                // 0000000063DC: D1FF0010 02062747
	v_cndmask_b32_e64 v5, v16, v18, s[46:47]                   // 0000000063E4: D1000005 00BA2510
	v_perm_b32 v61, v5, v4, s52                                // 0000000063EC: D1ED003D 00D20905
	v_cmp_u_f32_e64 s[46:47], v72, v72                         // 0000000063F4: D048002E 00029148
	v_add3_u32 v16, v72, v19, 1                                // 0000000063FC: D1FF0010 02062748
	v_cndmask_b32_e64 v4, v16, v18, s[46:47]                   // 000000006404: D1000004 00BA2510
	v_cmp_u_f32_e64 s[46:47], v73, v73                         // 00000000640C: D048002E 00029349
	v_add3_u32 v16, v73, v19, 1                                // 000000006414: D1FF0010 02062749
	v_cndmask_b32_e64 v5, v16, v18, s[46:47]                   // 00000000641C: D1000005 00BA2510
	v_perm_b32 v62, v5, v4, s52                                // 000000006424: D1ED003E 00D20905
	v_cmp_u_f32_e64 s[46:47], v74, v74                         // 00000000642C: D048002E 0002954A
	v_add3_u32 v16, v74, v19, 1                                // 000000006434: D1FF0010 0206274A
	v_cndmask_b32_e64 v4, v16, v18, s[46:47]                   // 00000000643C: D1000004 00BA2510
	v_cmp_u_f32_e64 s[46:47], v75, v75                         // 000000006444: D048002E 0002974B
	v_add3_u32 v16, v75, v19, 1                                // 00000000644C: D1FF0010 0206274B
	v_cndmask_b32_e64 v5, v16, v18, s[46:47]                   // 000000006454: D1000005 00BA2510
	v_perm_b32 v63, v5, v4, s52                                // 00000000645C: D1ED003F 00D20905
	v_cmp_u_f32_e64 s[46:47], v76, v76                         // 000000006464: D048002E 0002994C
	v_add3_u32 v16, v76, v19, 1                                // 00000000646C: D1FF0010 0206274C
	v_cndmask_b32_e64 v4, v16, v18, s[46:47]                   // 000000006474: D1000004 00BA2510
	v_cmp_u_f32_e64 s[46:47], v77, v77                         // 00000000647C: D048002E 00029B4D
	v_add3_u32 v16, v77, v19, 1                                // 000000006484: D1FF0010 0206274D
	v_cndmask_b32_e64 v5, v16, v18, s[46:47]                   // 00000000648C: D1000005 00BA2510
	v_perm_b32 v64, v5, v4, s52                                // 000000006494: D1ED0040 00D20905
	v_cmp_u_f32_e64 s[46:47], v78, v78                         // 00000000649C: D048002E 00029D4E
	v_add3_u32 v16, v78, v19, 1                                // 0000000064A4: D1FF0010 0206274E
	v_cndmask_b32_e64 v4, v16, v18, s[46:47]                   // 0000000064AC: D1000004 00BA2510
	v_cmp_u_f32_e64 s[46:47], v79, v79                         // 0000000064B4: D048002E 00029F4F
	v_add3_u32 v16, v79, v19, 1                                // 0000000064BC: D1FF0010 0206274F
	v_cndmask_b32_e64 v5, v16, v18, s[46:47]                   // 0000000064C4: D1000005 00BA2510
	v_perm_b32 v65, v5, v4, s52                                // 0000000064CC: D1ED0041 00D20905
	v_cmp_u_f32_e64 s[46:47], v80, v80                         // 0000000064D4: D048002E 0002A150
	v_add3_u32 v16, v80, v19, 1                                // 0000000064DC: D1FF0010 02062750
	v_cndmask_b32_e64 v4, v16, v18, s[46:47]                   // 0000000064E4: D1000004 00BA2510
	v_cmp_u_f32_e64 s[46:47], v81, v81                         // 0000000064EC: D048002E 0002A351
	v_add3_u32 v16, v81, v19, 1                                // 0000000064F4: D1FF0010 02062751
	v_cndmask_b32_e64 v5, v16, v18, s[46:47]                   // 0000000064FC: D1000005 00BA2510
	v_perm_b32 v66, v5, v4, s52                                // 000000006504: D1ED0042 00D20905
	v_cmp_u_f32_e64 s[46:47], v82, v82                         // 00000000650C: D048002E 0002A552
	v_add3_u32 v16, v82, v19, 1                                // 000000006514: D1FF0010 02062752
	v_cndmask_b32_e64 v4, v16, v18, s[46:47]                   // 00000000651C: D1000004 00BA2510
	v_cmp_u_f32_e64 s[46:47], v83, v83                         // 000000006524: D048002E 0002A753
	v_add3_u32 v16, v83, v19, 1                                // 00000000652C: D1FF0010 02062753
	v_cndmask_b32_e64 v5, v16, v18, s[46:47]                   // 000000006534: D1000005 00BA2510
	v_perm_b32 v67, v5, v4, s52                                // 00000000653C: D1ED0043 00D20905
	v_cmp_u_f32_e64 s[46:47], v84, v84                         // 000000006544: D048002E 0002A954
	v_add3_u32 v16, v84, v19, 1                                // 00000000654C: D1FF0010 02062754
	v_cndmask_b32_e64 v4, v16, v18, s[46:47]                   // 000000006554: D1000004 00BA2510
	v_cmp_u_f32_e64 s[46:47], v85, v85                         // 00000000655C: D048002E 0002AB55
	v_add3_u32 v16, v85, v19, 1                                // 000000006564: D1FF0010 02062755
	v_cndmask_b32_e64 v5, v16, v18, s[46:47]                   // 00000000656C: D1000005 00BA2510
	v_perm_b32 v68, v5, v4, s52                                // 000000006574: D1ED0044 00D20905
	v_cmp_u_f32_e64 s[46:47], v86, v86                         // 00000000657C: D048002E 0002AD56
	v_add3_u32 v16, v86, v19, 1                                // 000000006584: D1FF0010 02062756
	v_cndmask_b32_e64 v4, v16, v18, s[46:47]                   // 00000000658C: D1000004 00BA2510
	v_cmp_u_f32_e64 s[46:47], v87, v87                         // 000000006594: D048002E 0002AF57
	v_add3_u32 v16, v87, v19, 1                                // 00000000659C: D1FF0010 02062757
	v_cndmask_b32_e64 v5, v16, v18, s[46:47]                   // 0000000065A4: D1000005 00BA2510
	v_perm_b32 v69, v5, v4, s52                                // 0000000065AC: D1ED0045 00D20905
	v_cmp_u_f32_e64 s[46:47], v88, v88                         // 0000000065B4: D048002E 0002B158
	v_add3_u32 v16, v88, v19, 1                                // 0000000065BC: D1FF0010 02062758
	v_cndmask_b32_e64 v4, v16, v18, s[46:47]                   // 0000000065C4: D1000004 00BA2510
	v_cmp_u_f32_e64 s[46:47], v89, v89                         // 0000000065CC: D048002E 0002B359
	v_add3_u32 v16, v89, v19, 1                                // 0000000065D4: D1FF0010 02062759
	v_cndmask_b32_e64 v5, v16, v18, s[46:47]                   // 0000000065DC: D1000005 00BA2510
	v_perm_b32 v70, v5, v4, s52                                // 0000000065E4: D1ED0046 00D20905
	v_cmp_u_f32_e64 s[46:47], v90, v90                         // 0000000065EC: D048002E 0002B55A
	v_add3_u32 v16, v90, v19, 1                                // 0000000065F4: D1FF0010 0206275A
	v_cndmask_b32_e64 v4, v16, v18, s[46:47]                   // 0000000065FC: D1000004 00BA2510
	v_cmp_u_f32_e64 s[46:47], v91, v91                         // 000000006604: D048002E 0002B75B
	v_add3_u32 v16, v91, v19, 1                                // 00000000660C: D1FF0010 0206275B
	v_cndmask_b32_e64 v5, v16, v18, s[46:47]                   // 000000006614: D1000005 00BA2510
	v_perm_b32 v71, v5, v4, s52                                // 00000000661C: D1ED0047 00D20905
	v_cmp_u_f32_e64 s[46:47], v92, v92                         // 000000006624: D048002E 0002B95C
	v_add3_u32 v16, v92, v19, 1                                // 00000000662C: D1FF0010 0206275C
	v_cndmask_b32_e64 v4, v16, v18, s[46:47]                   // 000000006634: D1000004 00BA2510
	v_cmp_u_f32_e64 s[46:47], v93, v93                         // 00000000663C: D048002E 0002BB5D
	v_add3_u32 v16, v93, v19, 1                                // 000000006644: D1FF0010 0206275D
	v_cndmask_b32_e64 v5, v16, v18, s[46:47]                   // 00000000664C: D1000005 00BA2510
	v_perm_b32 v72, v5, v4, s52                                // 000000006654: D1ED0048 00D20905
	v_cmp_u_f32_e64 s[46:47], v94, v94                         // 00000000665C: D048002E 0002BD5E
	v_add3_u32 v16, v94, v19, 1                                // 000000006664: D1FF0010 0206275E
	v_cndmask_b32_e64 v4, v16, v18, s[46:47]                   // 00000000666C: D1000004 00BA2510
	v_cmp_u_f32_e64 s[46:47], v95, v95                         // 000000006674: D048002E 0002BF5F
	v_add3_u32 v16, v95, v19, 1                                // 00000000667C: D1FF0010 0206275F
	v_cndmask_b32_e64 v5, v16, v18, s[46:47]                   // 000000006684: D1000005 00BA2510
	v_perm_b32 v73, v5, v4, s52                                // 00000000668C: D1ED0049 00D20905
	v_cmp_u_f32_e64 s[46:47], v96, v96                         // 000000006694: D048002E 0002C160
	v_add3_u32 v16, v96, v19, 1                                // 00000000669C: D1FF0010 02062760
	v_cndmask_b32_e64 v4, v16, v18, s[46:47]                   // 0000000066A4: D1000004 00BA2510
	v_cmp_u_f32_e64 s[46:47], v97, v97                         // 0000000066AC: D048002E 0002C361
	v_add3_u32 v16, v97, v19, 1                                // 0000000066B4: D1FF0010 02062761
	v_cndmask_b32_e64 v5, v16, v18, s[46:47]                   // 0000000066BC: D1000005 00BA2510
	v_perm_b32 v74, v5, v4, s52                                // 0000000066C4: D1ED004A 00D20905
	v_cmp_u_f32_e64 s[46:47], v98, v98                         // 0000000066CC: D048002E 0002C562
	v_add3_u32 v16, v98, v19, 1                                // 0000000066D4: D1FF0010 02062762
	v_cndmask_b32_e64 v4, v16, v18, s[46:47]                   // 0000000066DC: D1000004 00BA2510
	v_cmp_u_f32_e64 s[46:47], v99, v99                         // 0000000066E4: D048002E 0002C763
	v_add3_u32 v16, v99, v19, 1                                // 0000000066EC: D1FF0010 02062763
	v_cndmask_b32_e64 v5, v16, v18, s[46:47]                   // 0000000066F4: D1000005 00BA2510
	v_perm_b32 v75, v5, v4, s52                                // 0000000066FC: D1ED004B 00D20905
	ds_write_b64 v20, v[52:53]                                 // 000000006704: D89A0000 00003414
	ds_write_b64 v20, v[54:55] offset:8704                     // 00000000670C: D89A2200 00003614
	ds_write_b64 v20, v[56:57] offset:17408                    // 000000006714: D89A4400 00003814
	ds_write_b64 v20, v[58:59] offset:2176                     // 00000000671C: D89A0880 00003A14
	ds_write_b64 v20, v[60:61] offset:10880                    // 000000006724: D89A2A80 00003C14
	ds_write_b64 v20, v[62:63] offset:19584                    // 00000000672C: D89A4C80 00003E14
	ds_write_b64 v20, v[64:65] offset:4352                     // 000000006734: D89A1100 00004014
	ds_write_b64 v20, v[66:67] offset:13056                    // 00000000673C: D89A3300 00004214
	ds_write_b64 v20, v[68:69] offset:21760                    // 000000006744: D89A5500 00004414
	ds_write_b64 v20, v[70:71] offset:6528                     // 00000000674C: D89A1980 00004614
	ds_write_b64 v20, v[72:73] offset:15232                    // 000000006754: D89A3B80 00004814
	ds_write_b64 v20, v[74:75] offset:23936                    // 00000000675C: D89A5D80 00004A14
	v_lshrrev_b32_e32 v4, 5, v0                                // 000000006764: 20080085
	v_xor_b32_e32 v5, 1, v4                                    // 000000006768: 2A0A0881
	s_mul_i32 s60, s65, 2                                      // 00000000676C: 923C8241
	s_cmp_eq_u32 s88, 0                                        // 000000006770: BF068058
	s_cselect_b32 s61, 1, 4                                    // 000000006774: 853D8481
	s_mul_i32 s60, s61, s60                                    // 000000006778: 923C3C3D
	v_readlane_b32 s82, v3, 0                                  // 00000000677C: D2890052 00010103
	s_lshr_b32 s61, s82, 24                                    // 000000006784: 8F3D9852
	s_and_b32 s82, s82, 0xffffff                               // 000000006788: 8652FF52 00FFFFFF
	s_mul_i32 s82, s82, s71                                    // 000000006790: 92524752
	s_mul_i32 s61, s60, s61                                    // 000000006794: 923D3D3C
	s_add_u32 s82, s82, s61                                    // 000000006798: 80523D52
	v_mul_lo_u32 v6, v5, s82                                   // 00000000679C: D2850006 0000A505
	v_readlane_b32 s82, v3, 1                                  // 0000000067A4: D2890052 00010303
	s_lshr_b32 s61, s82, 24                                    // 0000000067AC: 8F3D9852
	s_and_b32 s82, s82, 0xffffff                               // 0000000067B0: 8652FF52 00FFFFFF
	s_mul_i32 s82, s82, s71                                    // 0000000067B8: 92524752
	s_mul_i32 s61, s60, s61                                    // 0000000067BC: 923D3D3C
	s_add_u32 s82, s82, s61                                    // 0000000067C0: 80523D52
	v_mul_lo_u32 v7, v4, s82                                   // 0000000067C4: D2850007 0000A504
	v_add_u32_e32 v42, v6, v7                                  // 0000000067CC: 68540F06
	v_readlane_b32 s82, v3, 2                                  // 0000000067D0: D2890052 00010503
	s_lshr_b32 s61, s82, 24                                    // 0000000067D8: 8F3D9852
	s_and_b32 s82, s82, 0xffffff                               // 0000000067DC: 8652FF52 00FFFFFF
	s_mul_i32 s82, s82, s71                                    // 0000000067E4: 92524752
	s_mul_i32 s61, s60, s61                                    // 0000000067E8: 923D3D3C
	s_add_u32 s82, s82, s61                                    // 0000000067EC: 80523D52
	v_mul_lo_u32 v6, v5, s82                                   // 0000000067F0: D2850006 0000A505
	v_readlane_b32 s82, v3, 3                                  // 0000000067F8: D2890052 00010703
	s_lshr_b32 s61, s82, 24                                    // 000000006800: 8F3D9852
	s_and_b32 s82, s82, 0xffffff                               // 000000006804: 8652FF52 00FFFFFF
	s_mul_i32 s82, s82, s71                                    // 00000000680C: 92524752
	s_mul_i32 s61, s60, s61                                    // 000000006810: 923D3D3C
	s_add_u32 s82, s82, s61                                    // 000000006814: 80523D52
	v_mul_lo_u32 v7, v4, s82                                   // 000000006818: D2850007 0000A504
	v_add_u32_e32 v43, v6, v7                                  // 000000006820: 68560F06
	v_readlane_b32 s82, v3, 4                                  // 000000006824: D2890052 00010903
	s_lshr_b32 s61, s82, 24                                    // 00000000682C: 8F3D9852
	s_and_b32 s82, s82, 0xffffff                               // 000000006830: 8652FF52 00FFFFFF
	s_mul_i32 s82, s82, s71                                    // 000000006838: 92524752
	s_mul_i32 s61, s60, s61                                    // 00000000683C: 923D3D3C
	s_add_u32 s82, s82, s61                                    // 000000006840: 80523D52
	v_mul_lo_u32 v6, v5, s82                                   // 000000006844: D2850006 0000A505
	v_readlane_b32 s82, v3, 5                                  // 00000000684C: D2890052 00010B03
	s_lshr_b32 s61, s82, 24                                    // 000000006854: 8F3D9852
	s_and_b32 s82, s82, 0xffffff                               // 000000006858: 8652FF52 00FFFFFF
	s_mul_i32 s82, s82, s71                                    // 000000006860: 92524752
	s_mul_i32 s61, s60, s61                                    // 000000006864: 923D3D3C
	s_add_u32 s82, s82, s61                                    // 000000006868: 80523D52
	v_mul_lo_u32 v7, v4, s82                                   // 00000000686C: D2850007 0000A504
	v_add_u32_e32 v44, v6, v7                                  // 000000006874: 68580F06
	v_readlane_b32 s82, v3, 6                                  // 000000006878: D2890052 00010D03
	s_lshr_b32 s61, s82, 24                                    // 000000006880: 8F3D9852
	s_and_b32 s82, s82, 0xffffff                               // 000000006884: 8652FF52 00FFFFFF
	s_mul_i32 s82, s82, s71                                    // 00000000688C: 92524752
	s_mul_i32 s61, s60, s61                                    // 000000006890: 923D3D3C
	s_add_u32 s82, s82, s61                                    // 000000006894: 80523D52
	v_mul_lo_u32 v6, v5, s82                                   // 000000006898: D2850006 0000A505
	v_readlane_b32 s82, v3, 7                                  // 0000000068A0: D2890052 00010F03
	s_lshr_b32 s61, s82, 24                                    // 0000000068A8: 8F3D9852
	s_and_b32 s82, s82, 0xffffff                               // 0000000068AC: 8652FF52 00FFFFFF
	s_mul_i32 s82, s82, s71                                    // 0000000068B4: 92524752
	s_mul_i32 s61, s60, s61                                    // 0000000068B8: 923D3D3C
	s_add_u32 s82, s82, s61                                    // 0000000068BC: 80523D52
	v_mul_lo_u32 v7, v4, s82                                   // 0000000068C0: D2850007 0000A504
	v_add_u32_e32 v45, v6, v7                                  // 0000000068C8: 685A0F06
	v_readlane_b32 s82, v3, 8                                  // 0000000068CC: D2890052 00011103
	s_lshr_b32 s61, s82, 24                                    // 0000000068D4: 8F3D9852
	s_and_b32 s82, s82, 0xffffff                               // 0000000068D8: 8652FF52 00FFFFFF
	s_mul_i32 s82, s82, s71                                    // 0000000068E0: 92524752
	s_mul_i32 s61, s60, s61                                    // 0000000068E4: 923D3D3C
	s_add_u32 s82, s82, s61                                    // 0000000068E8: 80523D52
	v_mul_lo_u32 v6, v5, s82                                   // 0000000068EC: D2850006 0000A505
	v_readlane_b32 s82, v3, 9                                  // 0000000068F4: D2890052 00011303
	s_lshr_b32 s61, s82, 24                                    // 0000000068FC: 8F3D9852
	s_and_b32 s82, s82, 0xffffff                               // 000000006900: 8652FF52 00FFFFFF
	s_mul_i32 s82, s82, s71                                    // 000000006908: 92524752
	s_mul_i32 s61, s60, s61                                    // 00000000690C: 923D3D3C
	s_add_u32 s82, s82, s61                                    // 000000006910: 80523D52
	v_mul_lo_u32 v7, v4, s82                                   // 000000006914: D2850007 0000A504
	v_add_u32_e32 v46, v6, v7                                  // 00000000691C: 685C0F06
	v_readlane_b32 s82, v3, 10                                 // 000000006920: D2890052 00011503
	s_lshr_b32 s61, s82, 24                                    // 000000006928: 8F3D9852
	s_and_b32 s82, s82, 0xffffff                               // 00000000692C: 8652FF52 00FFFFFF
	s_mul_i32 s82, s82, s71                                    // 000000006934: 92524752
	s_mul_i32 s61, s60, s61                                    // 000000006938: 923D3D3C
	s_add_u32 s82, s82, s61                                    // 00000000693C: 80523D52
	v_mul_lo_u32 v6, v5, s82                                   // 000000006940: D2850006 0000A505
	v_readlane_b32 s82, v3, 11                                 // 000000006948: D2890052 00011703
	s_lshr_b32 s61, s82, 24                                    // 000000006950: 8F3D9852
	s_and_b32 s82, s82, 0xffffff                               // 000000006954: 8652FF52 00FFFFFF
	s_mul_i32 s82, s82, s71                                    // 00000000695C: 92524752
	s_mul_i32 s61, s60, s61                                    // 000000006960: 923D3D3C
	s_add_u32 s82, s82, s61                                    // 000000006964: 80523D52
	v_mul_lo_u32 v7, v4, s82                                   // 000000006968: D2850007 0000A504
	v_add_u32_e32 v47, v6, v7                                  // 000000006970: 685E0F06
	v_and_b32_e32 v4, 31, v0                                   // 000000006974: 2608009F
	v_lshrrev_b32_e32 v4, 1, v4                                // 000000006978: 20080881
	s_cmp_eq_u32 s88, 0                                        // 00000000697C: BF068058
	s_cselect_b32 s61, 2, 4                                    // 000000006980: 853D8482
	v_mul_lo_u32 v4, v4, s61                                   // 000000006984: D2850004 00007B04
	v_and_b32_e64 v5, v0, 1                                    // 00000000698C: D1130005 00010300
	v_add_u32_e32 v4, v4, v5                                   // 000000006994: 68080B04
	v_lshlrev_b32_e32 v4, 2, v4                                // 000000006998: 24080882
	v_add_u32_e32 v42, v42, v4                                 // 00000000699C: 6854092A
	v_add_u32_e32 v43, v43, v4                                 // 0000000069A0: 6856092B
	v_add_u32_e32 v44, v44, v4                                 // 0000000069A4: 6858092C
	v_add_u32_e32 v45, v45, v4                                 // 0000000069A8: 685A092D
	v_add_u32_e32 v46, v46, v4                                 // 0000000069AC: 685C092E
	v_add_u32_e32 v47, v47, v4                                 // 0000000069B0: 685E092F
	s_waitcnt lgkmcnt(0)                                       // 0000000069B4: BF8CC07F
	s_barrier                                                  // 0000000069B8: BF8A0000
	ds_read_b32 v52, v21                                       // 0000000069BC: D86C0000 34000015
	ds_read_b32 v53, v21 offset:64                             // 0000000069C4: D86C0040 35000015
	ds_read_b32 v54, v21 offset:2176                           // 0000000069CC: D86C0880 36000015
	ds_read_b32 v55, v21 offset:2240                           // 0000000069D4: D86C08C0 37000015
	ds_read_b32 v56, v21 offset:4352                           // 0000000069DC: D86C1100 38000015
	ds_read_b32 v57, v21 offset:4416                           // 0000000069E4: D86C1140 39000015
	ds_read_b32 v58, v21 offset:6528                           // 0000000069EC: D86C1980 3A000015
	ds_read_b32 v59, v21 offset:6592                           // 0000000069F4: D86C19C0 3B000015
	ds_read_b32 v60, v21 offset:8704                           // 0000000069FC: D86C2200 3C000015
	ds_read_b32 v61, v21 offset:8768                           // 000000006A04: D86C2240 3D000015
	ds_read_b32 v62, v21 offset:10880                          // 000000006A0C: D86C2A80 3E000015
	ds_read_b32 v63, v21 offset:10944                          // 000000006A14: D86C2AC0 3F000015
	ds_read_b32 v64, v21 offset:13056                          // 000000006A1C: D86C3300 40000015
	ds_read_b32 v65, v21 offset:13120                          // 000000006A24: D86C3340 41000015
	ds_read_b32 v66, v21 offset:15232                          // 000000006A2C: D86C3B80 42000015
	ds_read_b32 v67, v21 offset:15296                          // 000000006A34: D86C3BC0 43000015
	ds_read_b32 v68, v21 offset:17408                          // 000000006A3C: D86C4400 44000015
	ds_read_b32 v69, v21 offset:17472                          // 000000006A44: D86C4440 45000015
	ds_read_b32 v70, v21 offset:19584                          // 000000006A4C: D86C4C80 46000015
	ds_read_b32 v71, v21 offset:19648                          // 000000006A54: D86C4CC0 47000015
	ds_read_b32 v72, v21 offset:21760                          // 000000006A5C: D86C5500 48000015
	ds_read_b32 v73, v21 offset:21824                          // 000000006A64: D86C5540 49000015
	ds_read_b32 v74, v21 offset:23936                          // 000000006A6C: D86C5D80 4A000015
	ds_read_b32 v75, v21 offset:24000                          // 000000006A74: D86C5DC0 4B000015
	s_waitcnt lgkmcnt(0)                                       // 000000006A7C: BF8CC07F
	s_mov_b32 s36, -1                                          // 000000006A80: BEA400C1
	s_mov_b32 s37, -1                                          // 000000006A84: BEA500C1
	v_mov_b32_e32 v7, 0                                        // 000000006A88: 7E0E0280
	s_or_b32 s9, s9, 0x40000                                   // 000000006A8C: 8709FF09 00040000
	s_mov_b64 exec, s[36:37]                                   // 000000006A94: BEFE0124
	v_mov_b32_e32 v6, v42                                      // 000000006A98: 7E0C032A
	s_mov_b64 s[60:61], 0                                      // 000000006A9C: BEBC0180
	v_readlane_b32 s82, v3, 0                                  // 000000006AA0: D2890052 00010103
	s_and_b32 s82, s82, 0xffffff                               // 000000006AA8: 8652FF52 00FFFFFF
	s_cmp_lt_u32 s82, s66                                      // 000000006AB0: BF0A4252
	s_cselect_b32 s20, s36, s60                                // 000000006AB4: 85143C24
	v_readlane_b32 s82, v3, 1                                  // 000000006AB8: D2890052 00010303
	s_and_b32 s82, s82, 0xffffff                               // 000000006AC0: 8652FF52 00FFFFFF
	s_cmp_lt_u32 s82, s66                                      // 000000006AC8: BF0A4252
	s_cselect_b32 s21, s36, s60                                // 000000006ACC: 85153C24
	s_mov_b64 exec, s[20:21]                                   // 000000006AD0: BEFE0114
	buffer_store_dword v52, v6, s[8:11], 0 offen               // 000000006AD4: E0701000 80023406
	buffer_store_dword v54, v6, s[8:11], 0 offen offset:128    // 000000006ADC: E0701080 80023606
	buffer_store_dword v56, v6, s[8:11], 0 offen offset:256    // 000000006AE4: E0701100 80023806
	buffer_store_dword v58, v6, s[8:11], 0 offen offset:384    // 000000006AEC: E0701180 80023A06
	s_mov_b64 exec, s[36:37]                                   // 000000006AF4: BEFE0124
	v_mov_b32_e32 v6, v43                                      // 000000006AF8: 7E0C032B
	s_mov_b64 s[60:61], 0                                      // 000000006AFC: BEBC0180
	v_readlane_b32 s82, v3, 2                                  // 000000006B00: D2890052 00010503
	s_and_b32 s82, s82, 0xffffff                               // 000000006B08: 8652FF52 00FFFFFF
	s_cmp_lt_u32 s82, s66                                      // 000000006B10: BF0A4252
	s_cselect_b32 s20, s36, s60                                // 000000006B14: 85143C24
	v_readlane_b32 s82, v3, 3                                  // 000000006B18: D2890052 00010703
	s_and_b32 s82, s82, 0xffffff                               // 000000006B20: 8652FF52 00FFFFFF
	s_cmp_lt_u32 s82, s66                                      // 000000006B28: BF0A4252
	s_cselect_b32 s21, s36, s60                                // 000000006B2C: 85153C24
	s_mov_b64 exec, s[20:21]                                   // 000000006B30: BEFE0114
	buffer_store_dword v53, v6, s[8:11], 0 offen               // 000000006B34: E0701000 80023506
	buffer_store_dword v55, v6, s[8:11], 0 offen offset:128    // 000000006B3C: E0701080 80023706
	buffer_store_dword v57, v6, s[8:11], 0 offen offset:256    // 000000006B44: E0701100 80023906
	buffer_store_dword v59, v6, s[8:11], 0 offen offset:384    // 000000006B4C: E0701180 80023B06
	s_mov_b64 exec, s[36:37]                                   // 000000006B54: BEFE0124
	v_mov_b32_e32 v6, v44                                      // 000000006B58: 7E0C032C
	s_mov_b64 s[60:61], 0                                      // 000000006B5C: BEBC0180
	v_readlane_b32 s82, v3, 4                                  // 000000006B60: D2890052 00010903
	s_and_b32 s82, s82, 0xffffff                               // 000000006B68: 8652FF52 00FFFFFF
	s_cmp_lt_u32 s82, s66                                      // 000000006B70: BF0A4252
	s_cselect_b32 s20, s36, s60                                // 000000006B74: 85143C24
	v_readlane_b32 s82, v3, 5                                  // 000000006B78: D2890052 00010B03
	s_and_b32 s82, s82, 0xffffff                               // 000000006B80: 8652FF52 00FFFFFF
	s_cmp_lt_u32 s82, s66                                      // 000000006B88: BF0A4252
	s_cselect_b32 s21, s36, s60                                // 000000006B8C: 85153C24
	s_mov_b64 exec, s[20:21]                                   // 000000006B90: BEFE0114
	buffer_store_dword v60, v6, s[8:11], 0 offen               // 000000006B94: E0701000 80023C06
	buffer_store_dword v62, v6, s[8:11], 0 offen offset:128    // 000000006B9C: E0701080 80023E06
	buffer_store_dword v64, v6, s[8:11], 0 offen offset:256    // 000000006BA4: E0701100 80024006
	buffer_store_dword v66, v6, s[8:11], 0 offen offset:384    // 000000006BAC: E0701180 80024206
	s_mov_b64 exec, s[36:37]                                   // 000000006BB4: BEFE0124
	v_mov_b32_e32 v6, v45                                      // 000000006BB8: 7E0C032D
	s_mov_b64 s[60:61], 0                                      // 000000006BBC: BEBC0180
	v_readlane_b32 s82, v3, 6                                  // 000000006BC0: D2890052 00010D03
	s_and_b32 s82, s82, 0xffffff                               // 000000006BC8: 8652FF52 00FFFFFF
	s_cmp_lt_u32 s82, s66                                      // 000000006BD0: BF0A4252
	s_cselect_b32 s20, s36, s60                                // 000000006BD4: 85143C24
	v_readlane_b32 s82, v3, 7                                  // 000000006BD8: D2890052 00010F03
	s_and_b32 s82, s82, 0xffffff                               // 000000006BE0: 8652FF52 00FFFFFF
	s_cmp_lt_u32 s82, s66                                      // 000000006BE8: BF0A4252
	s_cselect_b32 s21, s36, s60                                // 000000006BEC: 85153C24
	s_mov_b64 exec, s[20:21]                                   // 000000006BF0: BEFE0114
	buffer_store_dword v61, v6, s[8:11], 0 offen               // 000000006BF4: E0701000 80023D06
	buffer_store_dword v63, v6, s[8:11], 0 offen offset:128    // 000000006BFC: E0701080 80023F06
	buffer_store_dword v65, v6, s[8:11], 0 offen offset:256    // 000000006C04: E0701100 80024106
	buffer_store_dword v67, v6, s[8:11], 0 offen offset:384    // 000000006C0C: E0701180 80024306
	s_mov_b64 exec, s[36:37]                                   // 000000006C14: BEFE0124
	v_mov_b32_e32 v6, v46                                      // 000000006C18: 7E0C032E
	s_mov_b64 s[60:61], 0                                      // 000000006C1C: BEBC0180
	v_readlane_b32 s82, v3, 8                                  // 000000006C20: D2890052 00011103
	s_and_b32 s82, s82, 0xffffff                               // 000000006C28: 8652FF52 00FFFFFF
	s_cmp_lt_u32 s82, s66                                      // 000000006C30: BF0A4252
	s_cselect_b32 s20, s36, s60                                // 000000006C34: 85143C24
	v_readlane_b32 s82, v3, 9                                  // 000000006C38: D2890052 00011303
	s_and_b32 s82, s82, 0xffffff                               // 000000006C40: 8652FF52 00FFFFFF
	s_cmp_lt_u32 s82, s66                                      // 000000006C48: BF0A4252
	s_cselect_b32 s21, s36, s60                                // 000000006C4C: 85153C24
	s_mov_b64 exec, s[20:21]                                   // 000000006C50: BEFE0114
	buffer_store_dword v68, v6, s[8:11], 0 offen               // 000000006C54: E0701000 80024406
	buffer_store_dword v70, v6, s[8:11], 0 offen offset:128    // 000000006C5C: E0701080 80024606
	buffer_store_dword v72, v6, s[8:11], 0 offen offset:256    // 000000006C64: E0701100 80024806
	buffer_store_dword v74, v6, s[8:11], 0 offen offset:384    // 000000006C6C: E0701180 80024A06
	s_mov_b64 exec, s[36:37]                                   // 000000006C74: BEFE0124
	v_mov_b32_e32 v6, v47                                      // 000000006C78: 7E0C032F
	s_mov_b64 s[60:61], 0                                      // 000000006C7C: BEBC0180
	v_readlane_b32 s82, v3, 10                                 // 000000006C80: D2890052 00011503
	s_and_b32 s82, s82, 0xffffff                               // 000000006C88: 8652FF52 00FFFFFF
	s_cmp_lt_u32 s82, s66                                      // 000000006C90: BF0A4252
	s_cselect_b32 s20, s36, s60                                // 000000006C94: 85143C24
	v_readlane_b32 s82, v3, 11                                 // 000000006C98: D2890052 00011703
	s_and_b32 s82, s82, 0xffffff                               // 000000006CA0: 8652FF52 00FFFFFF
	s_cmp_lt_u32 s82, s66                                      // 000000006CA8: BF0A4252
	s_cselect_b32 s21, s36, s60                                // 000000006CAC: 85153C24
	s_mov_b64 exec, s[20:21]                                   // 000000006CB0: BEFE0114
	buffer_store_dword v69, v6, s[8:11], 0 offen               // 000000006CB4: E0701000 80024506
	buffer_store_dword v71, v6, s[8:11], 0 offen offset:128    // 000000006CBC: E0701080 80024706
	buffer_store_dword v73, v6, s[8:11], 0 offen offset:256    // 000000006CC4: E0701100 80024906
	buffer_store_dword v75, v6, s[8:11], 0 offen offset:384    // 000000006CCC: E0701180 80024B06
	s_mov_b64 exec, s[36:37]                                   // 000000006CD4: BEFE0124
	s_branch label_272E                                        // 000000006CD8: BF821674

0000000000006cdc <label_10B7>:
	ds_write_b64 v20, v[52:53]                                 // 000000006CDC: D89A0000 00003414
	ds_write_b64 v20, v[56:57] offset:8704                     // 000000006CE4: D89A2200 00003814
	ds_write_b64 v20, v[60:61] offset:17408                    // 000000006CEC: D89A4400 00003C14
	ds_write_b64 v20, v[64:65] offset:2176                     // 000000006CF4: D89A0880 00004014
	ds_write_b64 v20, v[68:69] offset:10880                    // 000000006CFC: D89A2A80 00004414
	ds_write_b64 v20, v[72:73] offset:19584                    // 000000006D04: D89A4C80 00004814
	ds_write_b64 v20, v[76:77] offset:4352                     // 000000006D0C: D89A1100 00004C14
	ds_write_b64 v20, v[80:81] offset:13056                    // 000000006D14: D89A3300 00005014
	ds_write_b64 v20, v[84:85] offset:21760                    // 000000006D1C: D89A5500 00005414
	ds_write_b64 v20, v[88:89] offset:6528                     // 000000006D24: D89A1980 00005814
	ds_write_b64 v20, v[92:93] offset:15232                    // 000000006D2C: D89A3B80 00005C14
	ds_write_b64 v20, v[96:97] offset:23936                    // 000000006D34: D89A5D80 00006014
	v_lshrrev_b32_e32 v4, 5, v0                                // 000000006D3C: 20080085
	v_xor_b32_e32 v5, 1, v4                                    // 000000006D40: 2A0A0881
	s_mul_i32 s60, s65, 2                                      // 000000006D44: 923C8241
	s_cmp_eq_u32 s88, 0                                        // 000000006D48: BF068058
	s_cselect_b32 s61, 1, 4                                    // 000000006D4C: 853D8481
	s_mul_i32 s60, s61, s60                                    // 000000006D50: 923C3C3D
	v_readlane_b32 s82, v3, 0                                  // 000000006D54: D2890052 00010103
	s_lshr_b32 s61, s82, 24                                    // 000000006D5C: 8F3D9852
	s_and_b32 s82, s82, 0xffffff                               // 000000006D60: 8652FF52 00FFFFFF
	s_mul_i32 s82, s82, s71                                    // 000000006D68: 92524752
	s_mul_i32 s61, s60, s61                                    // 000000006D6C: 923D3D3C
	s_add_u32 s82, s82, s61                                    // 000000006D70: 80523D52
	v_mul_lo_u32 v6, v5, s82                                   // 000000006D74: D2850006 0000A505
	v_readlane_b32 s82, v3, 1                                  // 000000006D7C: D2890052 00010303
	s_lshr_b32 s61, s82, 24                                    // 000000006D84: 8F3D9852
	s_and_b32 s82, s82, 0xffffff                               // 000000006D88: 8652FF52 00FFFFFF
	s_mul_i32 s82, s82, s71                                    // 000000006D90: 92524752
	s_mul_i32 s61, s60, s61                                    // 000000006D94: 923D3D3C
	s_add_u32 s82, s82, s61                                    // 000000006D98: 80523D52
	v_mul_lo_u32 v7, v4, s82                                   // 000000006D9C: D2850007 0000A504
	v_add_u32_e32 v42, v6, v7                                  // 000000006DA4: 68540F06
	v_readlane_b32 s82, v3, 2                                  // 000000006DA8: D2890052 00010503
	s_lshr_b32 s61, s82, 24                                    // 000000006DB0: 8F3D9852
	s_and_b32 s82, s82, 0xffffff                               // 000000006DB4: 8652FF52 00FFFFFF
	s_mul_i32 s82, s82, s71                                    // 000000006DBC: 92524752
	s_mul_i32 s61, s60, s61                                    // 000000006DC0: 923D3D3C
	s_add_u32 s82, s82, s61                                    // 000000006DC4: 80523D52
	v_mul_lo_u32 v6, v5, s82                                   // 000000006DC8: D2850006 0000A505
	v_readlane_b32 s82, v3, 3                                  // 000000006DD0: D2890052 00010703
	s_lshr_b32 s61, s82, 24                                    // 000000006DD8: 8F3D9852
	s_and_b32 s82, s82, 0xffffff                               // 000000006DDC: 8652FF52 00FFFFFF
	s_mul_i32 s82, s82, s71                                    // 000000006DE4: 92524752
	s_mul_i32 s61, s60, s61                                    // 000000006DE8: 923D3D3C
	s_add_u32 s82, s82, s61                                    // 000000006DEC: 80523D52
	v_mul_lo_u32 v7, v4, s82                                   // 000000006DF0: D2850007 0000A504
	v_add_u32_e32 v43, v6, v7                                  // 000000006DF8: 68560F06
	v_readlane_b32 s82, v3, 4                                  // 000000006DFC: D2890052 00010903
	s_lshr_b32 s61, s82, 24                                    // 000000006E04: 8F3D9852
	s_and_b32 s82, s82, 0xffffff                               // 000000006E08: 8652FF52 00FFFFFF
	s_mul_i32 s82, s82, s71                                    // 000000006E10: 92524752
	s_mul_i32 s61, s60, s61                                    // 000000006E14: 923D3D3C
	s_add_u32 s82, s82, s61                                    // 000000006E18: 80523D52
	v_mul_lo_u32 v6, v5, s82                                   // 000000006E1C: D2850006 0000A505
	v_readlane_b32 s82, v3, 5                                  // 000000006E24: D2890052 00010B03
	s_lshr_b32 s61, s82, 24                                    // 000000006E2C: 8F3D9852
	s_and_b32 s82, s82, 0xffffff                               // 000000006E30: 8652FF52 00FFFFFF
	s_mul_i32 s82, s82, s71                                    // 000000006E38: 92524752
	s_mul_i32 s61, s60, s61                                    // 000000006E3C: 923D3D3C
	s_add_u32 s82, s82, s61                                    // 000000006E40: 80523D52
	v_mul_lo_u32 v7, v4, s82                                   // 000000006E44: D2850007 0000A504
	v_add_u32_e32 v44, v6, v7                                  // 000000006E4C: 68580F06
	v_readlane_b32 s82, v3, 6                                  // 000000006E50: D2890052 00010D03
	s_lshr_b32 s61, s82, 24                                    // 000000006E58: 8F3D9852
	s_and_b32 s82, s82, 0xffffff                               // 000000006E5C: 8652FF52 00FFFFFF
	s_mul_i32 s82, s82, s71                                    // 000000006E64: 92524752
	s_mul_i32 s61, s60, s61                                    // 000000006E68: 923D3D3C
	s_add_u32 s82, s82, s61                                    // 000000006E6C: 80523D52
	v_mul_lo_u32 v6, v5, s82                                   // 000000006E70: D2850006 0000A505
	v_readlane_b32 s82, v3, 7                                  // 000000006E78: D2890052 00010F03
	s_lshr_b32 s61, s82, 24                                    // 000000006E80: 8F3D9852
	s_and_b32 s82, s82, 0xffffff                               // 000000006E84: 8652FF52 00FFFFFF
	s_mul_i32 s82, s82, s71                                    // 000000006E8C: 92524752
	s_mul_i32 s61, s60, s61                                    // 000000006E90: 923D3D3C
	s_add_u32 s82, s82, s61                                    // 000000006E94: 80523D52
	v_mul_lo_u32 v7, v4, s82                                   // 000000006E98: D2850007 0000A504
	v_add_u32_e32 v45, v6, v7                                  // 000000006EA0: 685A0F06
	v_readlane_b32 s82, v3, 8                                  // 000000006EA4: D2890052 00011103
	s_lshr_b32 s61, s82, 24                                    // 000000006EAC: 8F3D9852
	s_and_b32 s82, s82, 0xffffff                               // 000000006EB0: 8652FF52 00FFFFFF
	s_mul_i32 s82, s82, s71                                    // 000000006EB8: 92524752
	s_mul_i32 s61, s60, s61                                    // 000000006EBC: 923D3D3C
	s_add_u32 s82, s82, s61                                    // 000000006EC0: 80523D52
	v_mul_lo_u32 v6, v5, s82                                   // 000000006EC4: D2850006 0000A505
	v_readlane_b32 s82, v3, 9                                  // 000000006ECC: D2890052 00011303
	s_lshr_b32 s61, s82, 24                                    // 000000006ED4: 8F3D9852
	s_and_b32 s82, s82, 0xffffff                               // 000000006ED8: 8652FF52 00FFFFFF
	s_mul_i32 s82, s82, s71                                    // 000000006EE0: 92524752
	s_mul_i32 s61, s60, s61                                    // 000000006EE4: 923D3D3C
	s_add_u32 s82, s82, s61                                    // 000000006EE8: 80523D52
	v_mul_lo_u32 v7, v4, s82                                   // 000000006EEC: D2850007 0000A504
	v_add_u32_e32 v46, v6, v7                                  // 000000006EF4: 685C0F06
	v_readlane_b32 s82, v3, 10                                 // 000000006EF8: D2890052 00011503
	s_lshr_b32 s61, s82, 24                                    // 000000006F00: 8F3D9852
	s_and_b32 s82, s82, 0xffffff                               // 000000006F04: 8652FF52 00FFFFFF
	s_mul_i32 s82, s82, s71                                    // 000000006F0C: 92524752
	s_mul_i32 s61, s60, s61                                    // 000000006F10: 923D3D3C
	s_add_u32 s82, s82, s61                                    // 000000006F14: 80523D52
	v_mul_lo_u32 v6, v5, s82                                   // 000000006F18: D2850006 0000A505
	v_readlane_b32 s82, v3, 11                                 // 000000006F20: D2890052 00011703
	s_lshr_b32 s61, s82, 24                                    // 000000006F28: 8F3D9852
	s_and_b32 s82, s82, 0xffffff                               // 000000006F2C: 8652FF52 00FFFFFF
	s_mul_i32 s82, s82, s71                                    // 000000006F34: 92524752
	s_mul_i32 s61, s60, s61                                    // 000000006F38: 923D3D3C
	s_add_u32 s82, s82, s61                                    // 000000006F3C: 80523D52
	v_mul_lo_u32 v7, v4, s82                                   // 000000006F40: D2850007 0000A504
	v_add_u32_e32 v47, v6, v7                                  // 000000006F48: 685E0F06
	v_and_b32_e32 v4, 31, v0                                   // 000000006F4C: 2608009F
	v_lshrrev_b32_e32 v4, 1, v4                                // 000000006F50: 20080881
	s_cmp_eq_u32 s88, 0                                        // 000000006F54: BF068058
	s_cselect_b32 s61, 2, 4                                    // 000000006F58: 853D8482
	v_mul_lo_u32 v4, v4, s61                                   // 000000006F5C: D2850004 00007B04
	v_and_b32_e64 v5, v0, 1                                    // 000000006F64: D1130005 00010300
	v_add_u32_e32 v4, v4, v5                                   // 000000006F6C: 68080B04
	v_lshlrev_b32_e32 v4, 2, v4                                // 000000006F70: 24080882
	v_add_u32_e32 v42, v42, v4                                 // 000000006F74: 6854092A
	v_add_u32_e32 v43, v43, v4                                 // 000000006F78: 6856092B
	v_add_u32_e32 v44, v44, v4                                 // 000000006F7C: 6858092C
	v_add_u32_e32 v45, v45, v4                                 // 000000006F80: 685A092D
	v_add_u32_e32 v46, v46, v4                                 // 000000006F84: 685C092E
	v_add_u32_e32 v47, v47, v4                                 // 000000006F88: 685E092F
	s_waitcnt lgkmcnt(0)                                       // 000000006F8C: BF8CC07F
	s_barrier                                                  // 000000006F90: BF8A0000
	ds_read_b32 v52, v21                                       // 000000006F94: D86C0000 34000015
	ds_read_b32 v53, v21 offset:64                             // 000000006F9C: D86C0040 35000015
	ds_read_b32 v56, v21 offset:2176                           // 000000006FA4: D86C0880 38000015
	ds_read_b32 v57, v21 offset:2240                           // 000000006FAC: D86C08C0 39000015
	ds_read_b32 v60, v21 offset:4352                           // 000000006FB4: D86C1100 3C000015
	ds_read_b32 v61, v21 offset:4416                           // 000000006FBC: D86C1140 3D000015
	ds_read_b32 v64, v21 offset:6528                           // 000000006FC4: D86C1980 40000015
	ds_read_b32 v65, v21 offset:6592                           // 000000006FCC: D86C19C0 41000015
	ds_read_b32 v68, v21 offset:8704                           // 000000006FD4: D86C2200 44000015
	ds_read_b32 v69, v21 offset:8768                           // 000000006FDC: D86C2240 45000015
	ds_read_b32 v72, v21 offset:10880                          // 000000006FE4: D86C2A80 48000015
	ds_read_b32 v73, v21 offset:10944                          // 000000006FEC: D86C2AC0 49000015
	ds_read_b32 v76, v21 offset:13056                          // 000000006FF4: D86C3300 4C000015
	ds_read_b32 v77, v21 offset:13120                          // 000000006FFC: D86C3340 4D000015
	ds_read_b32 v80, v21 offset:15232                          // 000000007004: D86C3B80 50000015
	ds_read_b32 v81, v21 offset:15296                          // 00000000700C: D86C3BC0 51000015
	ds_read_b32 v84, v21 offset:17408                          // 000000007014: D86C4400 54000015
	ds_read_b32 v85, v21 offset:17472                          // 00000000701C: D86C4440 55000015
	ds_read_b32 v88, v21 offset:19584                          // 000000007024: D86C4C80 58000015
	ds_read_b32 v89, v21 offset:19648                          // 00000000702C: D86C4CC0 59000015
	ds_read_b32 v92, v21 offset:21760                          // 000000007034: D86C5500 5C000015
	ds_read_b32 v93, v21 offset:21824                          // 00000000703C: D86C5540 5D000015
	ds_read_b32 v96, v21 offset:23936                          // 000000007044: D86C5D80 60000015
	ds_read_b32 v97, v21 offset:24000                          // 00000000704C: D86C5DC0 61000015
	s_waitcnt lgkmcnt(0)                                       // 000000007054: BF8CC07F
	s_mov_b32 s36, -1                                          // 000000007058: BEA400C1
	s_mov_b32 s37, -1                                          // 00000000705C: BEA500C1
	v_mov_b32_e32 v7, 0                                        // 000000007060: 7E0E0280
	s_mov_b64 exec, s[36:37]                                   // 000000007064: BEFE0124
	v_mov_b32_e32 v6, v42                                      // 000000007068: 7E0C032A
	s_mov_b64 s[60:61], 0                                      // 00000000706C: BEBC0180
	v_readlane_b32 s82, v3, 0                                  // 000000007070: D2890052 00010103
	s_and_b32 s82, s82, 0xffffff                               // 000000007078: 8652FF52 00FFFFFF
	s_cmp_lt_u32 s82, s66                                      // 000000007080: BF0A4252
	s_cselect_b32 s20, s36, s60                                // 000000007084: 85143C24
	v_readlane_b32 s82, v3, 1                                  // 000000007088: D2890052 00010303
	s_and_b32 s82, s82, 0xffffff                               // 000000007090: 8652FF52 00FFFFFF
	s_cmp_lt_u32 s82, s66                                      // 000000007098: BF0A4252
	s_cselect_b32 s21, s36, s60                                // 00000000709C: 85153C24
	s_mov_b64 exec, s[20:21]                                   // 0000000070A0: BEFE0114
	global_atomic_add_f32 v6, v52, s[8:9]                      // 0000000070A4: DD348000 00083406
	global_atomic_add_f32 v6, v56, s[8:9] offset:256           // 0000000070AC: DD348100 00083806
	global_atomic_add_f32 v6, v60, s[8:9] offset:512           // 0000000070B4: DD348200 00083C06
	global_atomic_add_f32 v6, v64, s[8:9] offset:768           // 0000000070BC: DD348300 00084006
	s_mov_b64 exec, s[36:37]                                   // 0000000070C4: BEFE0124
	v_mov_b32_e32 v6, v43                                      // 0000000070C8: 7E0C032B
	s_mov_b64 s[60:61], 0                                      // 0000000070CC: BEBC0180
	v_readlane_b32 s82, v3, 2                                  // 0000000070D0: D2890052 00010503
	s_and_b32 s82, s82, 0xffffff                               // 0000000070D8: 8652FF52 00FFFFFF
	s_cmp_lt_u32 s82, s66                                      // 0000000070E0: BF0A4252
	s_cselect_b32 s20, s36, s60                                // 0000000070E4: 85143C24
	v_readlane_b32 s82, v3, 3                                  // 0000000070E8: D2890052 00010703
	s_and_b32 s82, s82, 0xffffff                               // 0000000070F0: 8652FF52 00FFFFFF
	s_cmp_lt_u32 s82, s66                                      // 0000000070F8: BF0A4252
	s_cselect_b32 s21, s36, s60                                // 0000000070FC: 85153C24
	s_mov_b64 exec, s[20:21]                                   // 000000007100: BEFE0114
	global_atomic_add_f32 v6, v53, s[8:9]                      // 000000007104: DD348000 00083506
	global_atomic_add_f32 v6, v57, s[8:9] offset:256           // 00000000710C: DD348100 00083906
	global_atomic_add_f32 v6, v61, s[8:9] offset:512           // 000000007114: DD348200 00083D06
	global_atomic_add_f32 v6, v65, s[8:9] offset:768           // 00000000711C: DD348300 00084106
	s_mov_b64 exec, s[36:37]                                   // 000000007124: BEFE0124
	v_mov_b32_e32 v6, v44                                      // 000000007128: 7E0C032C
	s_mov_b64 s[60:61], 0                                      // 00000000712C: BEBC0180
	v_readlane_b32 s82, v3, 4                                  // 000000007130: D2890052 00010903
	s_and_b32 s82, s82, 0xffffff                               // 000000007138: 8652FF52 00FFFFFF
	s_cmp_lt_u32 s82, s66                                      // 000000007140: BF0A4252
	s_cselect_b32 s20, s36, s60                                // 000000007144: 85143C24
	v_readlane_b32 s82, v3, 5                                  // 000000007148: D2890052 00010B03
	s_and_b32 s82, s82, 0xffffff                               // 000000007150: 8652FF52 00FFFFFF
	s_cmp_lt_u32 s82, s66                                      // 000000007158: BF0A4252
	s_cselect_b32 s21, s36, s60                                // 00000000715C: 85153C24
	s_mov_b64 exec, s[20:21]                                   // 000000007160: BEFE0114
	global_atomic_add_f32 v6, v68, s[8:9]                      // 000000007164: DD348000 00084406
	global_atomic_add_f32 v6, v72, s[8:9] offset:256           // 00000000716C: DD348100 00084806
	global_atomic_add_f32 v6, v76, s[8:9] offset:512           // 000000007174: DD348200 00084C06
	global_atomic_add_f32 v6, v80, s[8:9] offset:768           // 00000000717C: DD348300 00085006
	s_mov_b64 exec, s[36:37]                                   // 000000007184: BEFE0124
	v_mov_b32_e32 v6, v45                                      // 000000007188: 7E0C032D
	s_mov_b64 s[60:61], 0                                      // 00000000718C: BEBC0180
	v_readlane_b32 s82, v3, 6                                  // 000000007190: D2890052 00010D03
	s_and_b32 s82, s82, 0xffffff                               // 000000007198: 8652FF52 00FFFFFF
	s_cmp_lt_u32 s82, s66                                      // 0000000071A0: BF0A4252
	s_cselect_b32 s20, s36, s60                                // 0000000071A4: 85143C24
	v_readlane_b32 s82, v3, 7                                  // 0000000071A8: D2890052 00010F03
	s_and_b32 s82, s82, 0xffffff                               // 0000000071B0: 8652FF52 00FFFFFF
	s_cmp_lt_u32 s82, s66                                      // 0000000071B8: BF0A4252
	s_cselect_b32 s21, s36, s60                                // 0000000071BC: 85153C24
	s_mov_b64 exec, s[20:21]                                   // 0000000071C0: BEFE0114
	global_atomic_add_f32 v6, v69, s[8:9]                      // 0000000071C4: DD348000 00084506
	global_atomic_add_f32 v6, v73, s[8:9] offset:256           // 0000000071CC: DD348100 00084906
	global_atomic_add_f32 v6, v77, s[8:9] offset:512           // 0000000071D4: DD348200 00084D06
	global_atomic_add_f32 v6, v81, s[8:9] offset:768           // 0000000071DC: DD348300 00085106
	s_mov_b64 exec, s[36:37]                                   // 0000000071E4: BEFE0124
	v_mov_b32_e32 v6, v46                                      // 0000000071E8: 7E0C032E
	s_mov_b64 s[60:61], 0                                      // 0000000071EC: BEBC0180
	v_readlane_b32 s82, v3, 8                                  // 0000000071F0: D2890052 00011103
	s_and_b32 s82, s82, 0xffffff                               // 0000000071F8: 8652FF52 00FFFFFF
	s_cmp_lt_u32 s82, s66                                      // 000000007200: BF0A4252
	s_cselect_b32 s20, s36, s60                                // 000000007204: 85143C24
	v_readlane_b32 s82, v3, 9                                  // 000000007208: D2890052 00011303
	s_and_b32 s82, s82, 0xffffff                               // 000000007210: 8652FF52 00FFFFFF
	s_cmp_lt_u32 s82, s66                                      // 000000007218: BF0A4252
	s_cselect_b32 s21, s36, s60                                // 00000000721C: 85153C24
	s_mov_b64 exec, s[20:21]                                   // 000000007220: BEFE0114
	global_atomic_add_f32 v6, v84, s[8:9]                      // 000000007224: DD348000 00085406
	global_atomic_add_f32 v6, v88, s[8:9] offset:256           // 00000000722C: DD348100 00085806
	global_atomic_add_f32 v6, v92, s[8:9] offset:512           // 000000007234: DD348200 00085C06
	global_atomic_add_f32 v6, v96, s[8:9] offset:768           // 00000000723C: DD348300 00086006
	s_mov_b64 exec, s[36:37]                                   // 000000007244: BEFE0124
	v_mov_b32_e32 v6, v47                                      // 000000007248: 7E0C032F
	s_mov_b64 s[60:61], 0                                      // 00000000724C: BEBC0180
	v_readlane_b32 s82, v3, 10                                 // 000000007250: D2890052 00011503
	s_and_b32 s82, s82, 0xffffff                               // 000000007258: 8652FF52 00FFFFFF
	s_cmp_lt_u32 s82, s66                                      // 000000007260: BF0A4252
	s_cselect_b32 s20, s36, s60                                // 000000007264: 85143C24
	v_readlane_b32 s82, v3, 11                                 // 000000007268: D2890052 00011703
	s_and_b32 s82, s82, 0xffffff                               // 000000007270: 8652FF52 00FFFFFF
	s_cmp_lt_u32 s82, s66                                      // 000000007278: BF0A4252
	s_cselect_b32 s21, s36, s60                                // 00000000727C: 85153C24
	s_mov_b64 exec, s[20:21]                                   // 000000007280: BEFE0114
	global_atomic_add_f32 v6, v85, s[8:9]                      // 000000007284: DD348000 00085506
	global_atomic_add_f32 v6, v89, s[8:9] offset:256           // 00000000728C: DD348100 00085906
	global_atomic_add_f32 v6, v93, s[8:9] offset:512           // 000000007294: DD348200 00085D06
	global_atomic_add_f32 v6, v97, s[8:9] offset:768           // 00000000729C: DD348300 00086106
	s_mov_b64 exec, s[36:37]                                   // 0000000072A4: BEFE0124
	ds_write_b64 v20, v[54:55]                                 // 0000000072A8: D89A0000 00003614
	ds_write_b64 v20, v[58:59] offset:8704                     // 0000000072B0: D89A2200 00003A14
	ds_write_b64 v20, v[62:63] offset:17408                    // 0000000072B8: D89A4400 00003E14
	ds_write_b64 v20, v[66:67] offset:2176                     // 0000000072C0: D89A0880 00004214
	ds_write_b64 v20, v[70:71] offset:10880                    // 0000000072C8: D89A2A80 00004614
	ds_write_b64 v20, v[74:75] offset:19584                    // 0000000072D0: D89A4C80 00004A14
	ds_write_b64 v20, v[78:79] offset:4352                     // 0000000072D8: D89A1100 00004E14
	ds_write_b64 v20, v[82:83] offset:13056                    // 0000000072E0: D89A3300 00005214
	ds_write_b64 v20, v[86:87] offset:21760                    // 0000000072E8: D89A5500 00005614
	ds_write_b64 v20, v[90:91] offset:6528                     // 0000000072F0: D89A1980 00005A14
	ds_write_b64 v20, v[94:95] offset:15232                    // 0000000072F8: D89A3B80 00005E14
	ds_write_b64 v20, v[98:99] offset:23936                    // 000000007300: D89A5D80 00006214
	s_waitcnt lgkmcnt(0)                                       // 000000007308: BF8CC07F
	s_barrier                                                  // 00000000730C: BF8A0000
	ds_read_b32 v54, v21                                       // 000000007310: D86C0000 36000015
	ds_read_b32 v55, v21 offset:64                             // 000000007318: D86C0040 37000015
	ds_read_b32 v58, v21 offset:2176                           // 000000007320: D86C0880 3A000015
	ds_read_b32 v59, v21 offset:2240                           // 000000007328: D86C08C0 3B000015
	ds_read_b32 v62, v21 offset:4352                           // 000000007330: D86C1100 3E000015
	ds_read_b32 v63, v21 offset:4416                           // 000000007338: D86C1140 3F000015
	ds_read_b32 v66, v21 offset:6528                           // 000000007340: D86C1980 42000015
	ds_read_b32 v67, v21 offset:6592                           // 000000007348: D86C19C0 43000015
	ds_read_b32 v70, v21 offset:8704                           // 000000007350: D86C2200 46000015
	ds_read_b32 v71, v21 offset:8768                           // 000000007358: D86C2240 47000015
	ds_read_b32 v74, v21 offset:10880                          // 000000007360: D86C2A80 4A000015
	ds_read_b32 v75, v21 offset:10944                          // 000000007368: D86C2AC0 4B000015
	ds_read_b32 v78, v21 offset:13056                          // 000000007370: D86C3300 4E000015
	ds_read_b32 v79, v21 offset:13120                          // 000000007378: D86C3340 4F000015
	ds_read_b32 v82, v21 offset:15232                          // 000000007380: D86C3B80 52000015
	ds_read_b32 v83, v21 offset:15296                          // 000000007388: D86C3BC0 53000015
	ds_read_b32 v86, v21 offset:17408                          // 000000007390: D86C4400 56000015
	ds_read_b32 v87, v21 offset:17472                          // 000000007398: D86C4440 57000015
	ds_read_b32 v90, v21 offset:19584                          // 0000000073A0: D86C4C80 5A000015
	ds_read_b32 v91, v21 offset:19648                          // 0000000073A8: D86C4CC0 5B000015
	ds_read_b32 v94, v21 offset:21760                          // 0000000073B0: D86C5500 5E000015
	ds_read_b32 v95, v21 offset:21824                          // 0000000073B8: D86C5540 5F000015
	ds_read_b32 v98, v21 offset:23936                          // 0000000073C0: D86C5D80 62000015
	ds_read_b32 v99, v21 offset:24000                          // 0000000073C8: D86C5DC0 63000015
	s_waitcnt lgkmcnt(0)                                       // 0000000073D0: BF8CC07F
	v_mov_b32_e32 v7, 0                                        // 0000000073D4: 7E0E0280
	s_mov_b64 exec, s[36:37]                                   // 0000000073D8: BEFE0124
	v_mov_b32_e32 v6, v42                                      // 0000000073DC: 7E0C032A
	s_mov_b64 s[60:61], 0                                      // 0000000073E0: BEBC0180
	v_readlane_b32 s82, v3, 0                                  // 0000000073E4: D2890052 00010103
	s_and_b32 s82, s82, 0xffffff                               // 0000000073EC: 8652FF52 00FFFFFF
	s_cmp_lt_u32 s82, s66                                      // 0000000073F4: BF0A4252
	s_cselect_b32 s20, s36, s60                                // 0000000073F8: 85143C24
	v_readlane_b32 s82, v3, 1                                  // 0000000073FC: D2890052 00010303
	s_and_b32 s82, s82, 0xffffff                               // 000000007404: 8652FF52 00FFFFFF
	s_cmp_lt_u32 s82, s66                                      // 00000000740C: BF0A4252
	s_cselect_b32 s21, s36, s60                                // 000000007410: 85153C24
	s_mov_b64 exec, s[20:21]                                   // 000000007414: BEFE0114
	global_atomic_add_f32 v6, v54, s[8:9] offset:8             // 000000007418: DD348008 00083606
	global_atomic_add_f32 v6, v58, s[8:9] offset:264           // 000000007420: DD348108 00083A06
	global_atomic_add_f32 v6, v62, s[8:9] offset:520           // 000000007428: DD348208 00083E06
	global_atomic_add_f32 v6, v66, s[8:9] offset:776           // 000000007430: DD348308 00084206
	s_mov_b64 exec, s[36:37]                                   // 000000007438: BEFE0124
	v_mov_b32_e32 v6, v43                                      // 00000000743C: 7E0C032B
	s_mov_b64 s[60:61], 0                                      // 000000007440: BEBC0180
	v_readlane_b32 s82, v3, 2                                  // 000000007444: D2890052 00010503
	s_and_b32 s82, s82, 0xffffff                               // 00000000744C: 8652FF52 00FFFFFF
	s_cmp_lt_u32 s82, s66                                      // 000000007454: BF0A4252
	s_cselect_b32 s20, s36, s60                                // 000000007458: 85143C24
	v_readlane_b32 s82, v3, 3                                  // 00000000745C: D2890052 00010703
	s_and_b32 s82, s82, 0xffffff                               // 000000007464: 8652FF52 00FFFFFF
	s_cmp_lt_u32 s82, s66                                      // 00000000746C: BF0A4252
	s_cselect_b32 s21, s36, s60                                // 000000007470: 85153C24
	s_mov_b64 exec, s[20:21]                                   // 000000007474: BEFE0114
	global_atomic_add_f32 v6, v55, s[8:9] offset:8             // 000000007478: DD348008 00083706
	global_atomic_add_f32 v6, v59, s[8:9] offset:264           // 000000007480: DD348108 00083B06
	global_atomic_add_f32 v6, v63, s[8:9] offset:520           // 000000007488: DD348208 00083F06
	global_atomic_add_f32 v6, v67, s[8:9] offset:776           // 000000007490: DD348308 00084306
	s_mov_b64 exec, s[36:37]                                   // 000000007498: BEFE0124
	v_mov_b32_e32 v6, v44                                      // 00000000749C: 7E0C032C
	s_mov_b64 s[60:61], 0                                      // 0000000074A0: BEBC0180
	v_readlane_b32 s82, v3, 4                                  // 0000000074A4: D2890052 00010903
	s_and_b32 s82, s82, 0xffffff                               // 0000000074AC: 8652FF52 00FFFFFF
	s_cmp_lt_u32 s82, s66                                      // 0000000074B4: BF0A4252
	s_cselect_b32 s20, s36, s60                                // 0000000074B8: 85143C24
	v_readlane_b32 s82, v3, 5                                  // 0000000074BC: D2890052 00010B03
	s_and_b32 s82, s82, 0xffffff                               // 0000000074C4: 8652FF52 00FFFFFF
	s_cmp_lt_u32 s82, s66                                      // 0000000074CC: BF0A4252
	s_cselect_b32 s21, s36, s60                                // 0000000074D0: 85153C24
	s_mov_b64 exec, s[20:21]                                   // 0000000074D4: BEFE0114
	global_atomic_add_f32 v6, v70, s[8:9] offset:8             // 0000000074D8: DD348008 00084606
	global_atomic_add_f32 v6, v74, s[8:9] offset:264           // 0000000074E0: DD348108 00084A06
	global_atomic_add_f32 v6, v78, s[8:9] offset:520           // 0000000074E8: DD348208 00084E06
	global_atomic_add_f32 v6, v82, s[8:9] offset:776           // 0000000074F0: DD348308 00085206
	s_mov_b64 exec, s[36:37]                                   // 0000000074F8: BEFE0124
	v_mov_b32_e32 v6, v45                                      // 0000000074FC: 7E0C032D
	s_mov_b64 s[60:61], 0                                      // 000000007500: BEBC0180
	v_readlane_b32 s82, v3, 6                                  // 000000007504: D2890052 00010D03
	s_and_b32 s82, s82, 0xffffff                               // 00000000750C: 8652FF52 00FFFFFF
	s_cmp_lt_u32 s82, s66                                      // 000000007514: BF0A4252
	s_cselect_b32 s20, s36, s60                                // 000000007518: 85143C24
	v_readlane_b32 s82, v3, 7                                  // 00000000751C: D2890052 00010F03
	s_and_b32 s82, s82, 0xffffff                               // 000000007524: 8652FF52 00FFFFFF
	s_cmp_lt_u32 s82, s66                                      // 00000000752C: BF0A4252
	s_cselect_b32 s21, s36, s60                                // 000000007530: 85153C24
	s_mov_b64 exec, s[20:21]                                   // 000000007534: BEFE0114
	global_atomic_add_f32 v6, v71, s[8:9] offset:8             // 000000007538: DD348008 00084706
	global_atomic_add_f32 v6, v75, s[8:9] offset:264           // 000000007540: DD348108 00084B06
	global_atomic_add_f32 v6, v79, s[8:9] offset:520           // 000000007548: DD348208 00084F06
	global_atomic_add_f32 v6, v83, s[8:9] offset:776           // 000000007550: DD348308 00085306
	s_mov_b64 exec, s[36:37]                                   // 000000007558: BEFE0124
	v_mov_b32_e32 v6, v46                                      // 00000000755C: 7E0C032E
	s_mov_b64 s[60:61], 0                                      // 000000007560: BEBC0180
	v_readlane_b32 s82, v3, 8                                  // 000000007564: D2890052 00011103
	s_and_b32 s82, s82, 0xffffff                               // 00000000756C: 8652FF52 00FFFFFF
	s_cmp_lt_u32 s82, s66                                      // 000000007574: BF0A4252
	s_cselect_b32 s20, s36, s60                                // 000000007578: 85143C24
	v_readlane_b32 s82, v3, 9                                  // 00000000757C: D2890052 00011303
	s_and_b32 s82, s82, 0xffffff                               // 000000007584: 8652FF52 00FFFFFF
	s_cmp_lt_u32 s82, s66                                      // 00000000758C: BF0A4252
	s_cselect_b32 s21, s36, s60                                // 000000007590: 85153C24
	s_mov_b64 exec, s[20:21]                                   // 000000007594: BEFE0114
	global_atomic_add_f32 v6, v86, s[8:9] offset:8             // 000000007598: DD348008 00085606
	global_atomic_add_f32 v6, v90, s[8:9] offset:264           // 0000000075A0: DD348108 00085A06
	global_atomic_add_f32 v6, v94, s[8:9] offset:520           // 0000000075A8: DD348208 00085E06
	global_atomic_add_f32 v6, v98, s[8:9] offset:776           // 0000000075B0: DD348308 00086206
	s_mov_b64 exec, s[36:37]                                   // 0000000075B8: BEFE0124
	v_mov_b32_e32 v6, v47                                      // 0000000075BC: 7E0C032F
	s_mov_b64 s[60:61], 0                                      // 0000000075C0: BEBC0180
	v_readlane_b32 s82, v3, 10                                 // 0000000075C4: D2890052 00011503
	s_and_b32 s82, s82, 0xffffff                               // 0000000075CC: 8652FF52 00FFFFFF
	s_cmp_lt_u32 s82, s66                                      // 0000000075D4: BF0A4252
	s_cselect_b32 s20, s36, s60                                // 0000000075D8: 85143C24
	v_readlane_b32 s82, v3, 11                                 // 0000000075DC: D2890052 00011703
	s_and_b32 s82, s82, 0xffffff                               // 0000000075E4: 8652FF52 00FFFFFF
	s_cmp_lt_u32 s82, s66                                      // 0000000075EC: BF0A4252
	s_cselect_b32 s21, s36, s60                                // 0000000075F0: 85153C24
	s_mov_b64 exec, s[20:21]                                   // 0000000075F4: BEFE0114
	global_atomic_add_f32 v6, v87, s[8:9] offset:8             // 0000000075F8: DD348008 00085706
	global_atomic_add_f32 v6, v91, s[8:9] offset:264           // 000000007600: DD348108 00085B06
	global_atomic_add_f32 v6, v95, s[8:9] offset:520           // 000000007608: DD348208 00085F06
	global_atomic_add_f32 v6, v99, s[8:9] offset:776           // 000000007610: DD348308 00086306
	s_mov_b64 exec, s[36:37]                                   // 000000007618: BEFE0124
	ds_write_b64 v20, v[100:101]                               // 00000000761C: D89A0000 00006414
	ds_write_b64 v20, v[104:105] offset:8704                   // 000000007624: D89A2200 00006814
	ds_write_b64 v20, v[108:109] offset:17408                  // 00000000762C: D89A4400 00006C14
	ds_write_b64 v20, v[112:113] offset:2176                   // 000000007634: D89A0880 00007014
	ds_write_b64 v20, v[116:117] offset:10880                  // 00000000763C: D89A2A80 00007414
	ds_write_b64 v20, v[120:121] offset:19584                  // 000000007644: D89A4C80 00007814
	ds_write_b64 v20, v[124:125] offset:4352                   // 00000000764C: D89A1100 00007C14
	ds_write_b64 v20, v[128:129] offset:13056                  // 000000007654: D89A3300 00008014
	ds_write_b64 v20, v[132:133] offset:21760                  // 00000000765C: D89A5500 00008414
	ds_write_b64 v20, v[136:137] offset:6528                   // 000000007664: D89A1980 00008814
	ds_write_b64 v20, v[140:141] offset:15232                  // 00000000766C: D89A3B80 00008C14
	ds_write_b64 v20, v[144:145] offset:23936                  // 000000007674: D89A5D80 00009014
	s_waitcnt lgkmcnt(0)                                       // 00000000767C: BF8CC07F
	s_barrier                                                  // 000000007680: BF8A0000
	ds_read_b32 v100, v21                                      // 000000007684: D86C0000 64000015
	ds_read_b32 v101, v21 offset:64                            // 00000000768C: D86C0040 65000015
	ds_read_b32 v104, v21 offset:2176                          // 000000007694: D86C0880 68000015
	ds_read_b32 v105, v21 offset:2240                          // 00000000769C: D86C08C0 69000015
	ds_read_b32 v108, v21 offset:4352                          // 0000000076A4: D86C1100 6C000015
	ds_read_b32 v109, v21 offset:4416                          // 0000000076AC: D86C1140 6D000015
	ds_read_b32 v112, v21 offset:6528                          // 0000000076B4: D86C1980 70000015
	ds_read_b32 v113, v21 offset:6592                          // 0000000076BC: D86C19C0 71000015
	ds_read_b32 v116, v21 offset:8704                          // 0000000076C4: D86C2200 74000015
	ds_read_b32 v117, v21 offset:8768                          // 0000000076CC: D86C2240 75000015
	ds_read_b32 v120, v21 offset:10880                         // 0000000076D4: D86C2A80 78000015
	ds_read_b32 v121, v21 offset:10944                         // 0000000076DC: D86C2AC0 79000015
	ds_read_b32 v124, v21 offset:13056                         // 0000000076E4: D86C3300 7C000015
	ds_read_b32 v125, v21 offset:13120                         // 0000000076EC: D86C3340 7D000015
	ds_read_b32 v128, v21 offset:15232                         // 0000000076F4: D86C3B80 80000015
	ds_read_b32 v129, v21 offset:15296                         // 0000000076FC: D86C3BC0 81000015
	ds_read_b32 v132, v21 offset:17408                         // 000000007704: D86C4400 84000015
	ds_read_b32 v133, v21 offset:17472                         // 00000000770C: D86C4440 85000015
	ds_read_b32 v136, v21 offset:19584                         // 000000007714: D86C4C80 88000015
	ds_read_b32 v137, v21 offset:19648                         // 00000000771C: D86C4CC0 89000015
	ds_read_b32 v140, v21 offset:21760                         // 000000007724: D86C5500 8C000015
	ds_read_b32 v141, v21 offset:21824                         // 00000000772C: D86C5540 8D000015
	ds_read_b32 v144, v21 offset:23936                         // 000000007734: D86C5D80 90000015
	ds_read_b32 v145, v21 offset:24000                         // 00000000773C: D86C5DC0 91000015
	s_mul_i32 s60, s65, 4                                      // 000000007744: 923C8441
	s_add_u32 s8, s60, s8                                      // 000000007748: 8008083C
	s_addc_u32 s9, 0, s9                                       // 00000000774C: 82090980
	s_waitcnt lgkmcnt(0)                                       // 000000007750: BF8CC07F
	v_mov_b32_e32 v7, 0                                        // 000000007754: 7E0E0280
	s_mov_b64 exec, s[36:37]                                   // 000000007758: BEFE0124
	v_mov_b32_e32 v6, v42                                      // 00000000775C: 7E0C032A
	s_mov_b64 s[60:61], 0                                      // 000000007760: BEBC0180
	v_readlane_b32 s82, v3, 0                                  // 000000007764: D2890052 00010103
	s_and_b32 s82, s82, 0xffffff                               // 00000000776C: 8652FF52 00FFFFFF
	s_cmp_lt_u32 s82, s66                                      // 000000007774: BF0A4252
	s_cselect_b32 s20, s36, s60                                // 000000007778: 85143C24
	v_readlane_b32 s82, v3, 1                                  // 00000000777C: D2890052 00010303
	s_and_b32 s82, s82, 0xffffff                               // 000000007784: 8652FF52 00FFFFFF
	s_cmp_lt_u32 s82, s66                                      // 00000000778C: BF0A4252
	s_cselect_b32 s21, s36, s60                                // 000000007790: 85153C24
	s_mov_b64 exec, s[20:21]                                   // 000000007794: BEFE0114
	global_atomic_add_f32 v6, v100, s[8:9]                     // 000000007798: DD348000 00086406
	global_atomic_add_f32 v6, v104, s[8:9] offset:256          // 0000000077A0: DD348100 00086806
	global_atomic_add_f32 v6, v108, s[8:9] offset:512          // 0000000077A8: DD348200 00086C06
	global_atomic_add_f32 v6, v112, s[8:9] offset:768          // 0000000077B0: DD348300 00087006
	s_mov_b64 exec, s[36:37]                                   // 0000000077B8: BEFE0124
	v_mov_b32_e32 v6, v43                                      // 0000000077BC: 7E0C032B
	s_mov_b64 s[60:61], 0                                      // 0000000077C0: BEBC0180
	v_readlane_b32 s82, v3, 2                                  // 0000000077C4: D2890052 00010503
	s_and_b32 s82, s82, 0xffffff                               // 0000000077CC: 8652FF52 00FFFFFF
	s_cmp_lt_u32 s82, s66                                      // 0000000077D4: BF0A4252
	s_cselect_b32 s20, s36, s60                                // 0000000077D8: 85143C24
	v_readlane_b32 s82, v3, 3                                  // 0000000077DC: D2890052 00010703
	s_and_b32 s82, s82, 0xffffff                               // 0000000077E4: 8652FF52 00FFFFFF
	s_cmp_lt_u32 s82, s66                                      // 0000000077EC: BF0A4252
	s_cselect_b32 s21, s36, s60                                // 0000000077F0: 85153C24
	s_mov_b64 exec, s[20:21]                                   // 0000000077F4: BEFE0114
	global_atomic_add_f32 v6, v101, s[8:9]                     // 0000000077F8: DD348000 00086506
	global_atomic_add_f32 v6, v105, s[8:9] offset:256          // 000000007800: DD348100 00086906
	global_atomic_add_f32 v6, v109, s[8:9] offset:512          // 000000007808: DD348200 00086D06
	global_atomic_add_f32 v6, v113, s[8:9] offset:768          // 000000007810: DD348300 00087106
	s_mov_b64 exec, s[36:37]                                   // 000000007818: BEFE0124
	v_mov_b32_e32 v6, v44                                      // 00000000781C: 7E0C032C
	s_mov_b64 s[60:61], 0                                      // 000000007820: BEBC0180
	v_readlane_b32 s82, v3, 4                                  // 000000007824: D2890052 00010903
	s_and_b32 s82, s82, 0xffffff                               // 00000000782C: 8652FF52 00FFFFFF
	s_cmp_lt_u32 s82, s66                                      // 000000007834: BF0A4252
	s_cselect_b32 s20, s36, s60                                // 000000007838: 85143C24
	v_readlane_b32 s82, v3, 5                                  // 00000000783C: D2890052 00010B03
	s_and_b32 s82, s82, 0xffffff                               // 000000007844: 8652FF52 00FFFFFF
	s_cmp_lt_u32 s82, s66                                      // 00000000784C: BF0A4252
	s_cselect_b32 s21, s36, s60                                // 000000007850: 85153C24
	s_mov_b64 exec, s[20:21]                                   // 000000007854: BEFE0114
	global_atomic_add_f32 v6, v116, s[8:9]                     // 000000007858: DD348000 00087406
	global_atomic_add_f32 v6, v120, s[8:9] offset:256          // 000000007860: DD348100 00087806
	global_atomic_add_f32 v6, v124, s[8:9] offset:512          // 000000007868: DD348200 00087C06
	global_atomic_add_f32 v6, v128, s[8:9] offset:768          // 000000007870: DD348300 00088006
	s_mov_b64 exec, s[36:37]                                   // 000000007878: BEFE0124
	v_mov_b32_e32 v6, v45                                      // 00000000787C: 7E0C032D
	s_mov_b64 s[60:61], 0                                      // 000000007880: BEBC0180
	v_readlane_b32 s82, v3, 6                                  // 000000007884: D2890052 00010D03
	s_and_b32 s82, s82, 0xffffff                               // 00000000788C: 8652FF52 00FFFFFF
	s_cmp_lt_u32 s82, s66                                      // 000000007894: BF0A4252
	s_cselect_b32 s20, s36, s60                                // 000000007898: 85143C24
	v_readlane_b32 s82, v3, 7                                  // 00000000789C: D2890052 00010F03
	s_and_b32 s82, s82, 0xffffff                               // 0000000078A4: 8652FF52 00FFFFFF
	s_cmp_lt_u32 s82, s66                                      // 0000000078AC: BF0A4252
	s_cselect_b32 s21, s36, s60                                // 0000000078B0: 85153C24
	s_mov_b64 exec, s[20:21]                                   // 0000000078B4: BEFE0114
	global_atomic_add_f32 v6, v117, s[8:9]                     // 0000000078B8: DD348000 00087506
	global_atomic_add_f32 v6, v121, s[8:9] offset:256          // 0000000078C0: DD348100 00087906
	global_atomic_add_f32 v6, v125, s[8:9] offset:512          // 0000000078C8: DD348200 00087D06
	global_atomic_add_f32 v6, v129, s[8:9] offset:768          // 0000000078D0: DD348300 00088106
	s_mov_b64 exec, s[36:37]                                   // 0000000078D8: BEFE0124
	v_mov_b32_e32 v6, v46                                      // 0000000078DC: 7E0C032E
	s_mov_b64 s[60:61], 0                                      // 0000000078E0: BEBC0180
	v_readlane_b32 s82, v3, 8                                  // 0000000078E4: D2890052 00011103
	s_and_b32 s82, s82, 0xffffff                               // 0000000078EC: 8652FF52 00FFFFFF
	s_cmp_lt_u32 s82, s66                                      // 0000000078F4: BF0A4252
	s_cselect_b32 s20, s36, s60                                // 0000000078F8: 85143C24
	v_readlane_b32 s82, v3, 9                                  // 0000000078FC: D2890052 00011303
	s_and_b32 s82, s82, 0xffffff                               // 000000007904: 8652FF52 00FFFFFF
	s_cmp_lt_u32 s82, s66                                      // 00000000790C: BF0A4252
	s_cselect_b32 s21, s36, s60                                // 000000007910: 85153C24
	s_mov_b64 exec, s[20:21]                                   // 000000007914: BEFE0114
	global_atomic_add_f32 v6, v132, s[8:9]                     // 000000007918: DD348000 00088406
	global_atomic_add_f32 v6, v136, s[8:9] offset:256          // 000000007920: DD348100 00088806
	global_atomic_add_f32 v6, v140, s[8:9] offset:512          // 000000007928: DD348200 00088C06
	global_atomic_add_f32 v6, v144, s[8:9] offset:768          // 000000007930: DD348300 00089006
	s_mov_b64 exec, s[36:37]                                   // 000000007938: BEFE0124
	v_mov_b32_e32 v6, v47                                      // 00000000793C: 7E0C032F
	s_mov_b64 s[60:61], 0                                      // 000000007940: BEBC0180
	v_readlane_b32 s82, v3, 10                                 // 000000007944: D2890052 00011503
	s_and_b32 s82, s82, 0xffffff                               // 00000000794C: 8652FF52 00FFFFFF
	s_cmp_lt_u32 s82, s66                                      // 000000007954: BF0A4252
	s_cselect_b32 s20, s36, s60                                // 000000007958: 85143C24
	v_readlane_b32 s82, v3, 11                                 // 00000000795C: D2890052 00011703
	s_and_b32 s82, s82, 0xffffff                               // 000000007964: 8652FF52 00FFFFFF
	s_cmp_lt_u32 s82, s66                                      // 00000000796C: BF0A4252
	s_cselect_b32 s21, s36, s60                                // 000000007970: 85153C24
	s_mov_b64 exec, s[20:21]                                   // 000000007974: BEFE0114
	global_atomic_add_f32 v6, v133, s[8:9]                     // 000000007978: DD348000 00088506
	global_atomic_add_f32 v6, v137, s[8:9] offset:256          // 000000007980: DD348100 00088906
	global_atomic_add_f32 v6, v141, s[8:9] offset:512          // 000000007988: DD348200 00088D06
	global_atomic_add_f32 v6, v145, s[8:9] offset:768          // 000000007990: DD348300 00089106
	s_mov_b64 exec, s[36:37]                                   // 000000007998: BEFE0124
	ds_write_b64 v20, v[102:103]                               // 00000000799C: D89A0000 00006614
	ds_write_b64 v20, v[106:107] offset:8704                   // 0000000079A4: D89A2200 00006A14
	ds_write_b64 v20, v[110:111] offset:17408                  // 0000000079AC: D89A4400 00006E14
	ds_write_b64 v20, v[114:115] offset:2176                   // 0000000079B4: D89A0880 00007214
	ds_write_b64 v20, v[118:119] offset:10880                  // 0000000079BC: D89A2A80 00007614
	ds_write_b64 v20, v[122:123] offset:19584                  // 0000000079C4: D89A4C80 00007A14
	ds_write_b64 v20, v[126:127] offset:4352                   // 0000000079CC: D89A1100 00007E14
	ds_write_b64 v20, v[130:131] offset:13056                  // 0000000079D4: D89A3300 00008214
	ds_write_b64 v20, v[134:135] offset:21760                  // 0000000079DC: D89A5500 00008614
	ds_write_b64 v20, v[138:139] offset:6528                   // 0000000079E4: D89A1980 00008A14
	ds_write_b64 v20, v[142:143] offset:15232                  // 0000000079EC: D89A3B80 00008E14
	ds_write_b64 v20, v[146:147] offset:23936                  // 0000000079F4: D89A5D80 00009214
	s_waitcnt lgkmcnt(0)                                       // 0000000079FC: BF8CC07F
	s_barrier                                                  // 000000007A00: BF8A0000
	ds_read_b32 v102, v21                                      // 000000007A04: D86C0000 66000015
	ds_read_b32 v103, v21 offset:64                            // 000000007A0C: D86C0040 67000015
	ds_read_b32 v106, v21 offset:2176                          // 000000007A14: D86C0880 6A000015
	ds_read_b32 v107, v21 offset:2240                          // 000000007A1C: D86C08C0 6B000015
	ds_read_b32 v110, v21 offset:4352                          // 000000007A24: D86C1100 6E000015
	ds_read_b32 v111, v21 offset:4416                          // 000000007A2C: D86C1140 6F000015
	ds_read_b32 v114, v21 offset:6528                          // 000000007A34: D86C1980 72000015
	ds_read_b32 v115, v21 offset:6592                          // 000000007A3C: D86C19C0 73000015
	ds_read_b32 v118, v21 offset:8704                          // 000000007A44: D86C2200 76000015
	ds_read_b32 v119, v21 offset:8768                          // 000000007A4C: D86C2240 77000015
	ds_read_b32 v122, v21 offset:10880                         // 000000007A54: D86C2A80 7A000015
	ds_read_b32 v123, v21 offset:10944                         // 000000007A5C: D86C2AC0 7B000015
	ds_read_b32 v126, v21 offset:13056                         // 000000007A64: D86C3300 7E000015
	ds_read_b32 v127, v21 offset:13120                         // 000000007A6C: D86C3340 7F000015
	ds_read_b32 v130, v21 offset:15232                         // 000000007A74: D86C3B80 82000015
	ds_read_b32 v131, v21 offset:15296                         // 000000007A7C: D86C3BC0 83000015
	ds_read_b32 v134, v21 offset:17408                         // 000000007A84: D86C4400 86000015
	ds_read_b32 v135, v21 offset:17472                         // 000000007A8C: D86C4440 87000015
	ds_read_b32 v138, v21 offset:19584                         // 000000007A94: D86C4C80 8A000015
	ds_read_b32 v139, v21 offset:19648                         // 000000007A9C: D86C4CC0 8B000015
	ds_read_b32 v142, v21 offset:21760                         // 000000007AA4: D86C5500 8E000015
	ds_read_b32 v143, v21 offset:21824                         // 000000007AAC: D86C5540 8F000015
	ds_read_b32 v146, v21 offset:23936                         // 000000007AB4: D86C5D80 92000015
	ds_read_b32 v147, v21 offset:24000                         // 000000007ABC: D86C5DC0 93000015
	s_waitcnt lgkmcnt(0)                                       // 000000007AC4: BF8CC07F
	v_mov_b32_e32 v7, 0                                        // 000000007AC8: 7E0E0280
	s_mov_b64 exec, s[36:37]                                   // 000000007ACC: BEFE0124
	v_mov_b32_e32 v6, v42                                      // 000000007AD0: 7E0C032A
	s_mov_b64 s[60:61], 0                                      // 000000007AD4: BEBC0180
	v_readlane_b32 s82, v3, 0                                  // 000000007AD8: D2890052 00010103
	s_and_b32 s82, s82, 0xffffff                               // 000000007AE0: 8652FF52 00FFFFFF
	s_cmp_lt_u32 s82, s66                                      // 000000007AE8: BF0A4252
	s_cselect_b32 s20, s36, s60                                // 000000007AEC: 85143C24
	v_readlane_b32 s82, v3, 1                                  // 000000007AF0: D2890052 00010303
	s_and_b32 s82, s82, 0xffffff                               // 000000007AF8: 8652FF52 00FFFFFF
	s_cmp_lt_u32 s82, s66                                      // 000000007B00: BF0A4252
	s_cselect_b32 s21, s36, s60                                // 000000007B04: 85153C24
	s_mov_b64 exec, s[20:21]                                   // 000000007B08: BEFE0114
	global_atomic_add_f32 v6, v102, s[8:9] offset:8            // 000000007B0C: DD348008 00086606
	global_atomic_add_f32 v6, v106, s[8:9] offset:264          // 000000007B14: DD348108 00086A06
	global_atomic_add_f32 v6, v110, s[8:9] offset:520          // 000000007B1C: DD348208 00086E06
	global_atomic_add_f32 v6, v114, s[8:9] offset:776          // 000000007B24: DD348308 00087206
	s_mov_b64 exec, s[36:37]                                   // 000000007B2C: BEFE0124
	v_mov_b32_e32 v6, v43                                      // 000000007B30: 7E0C032B
	s_mov_b64 s[60:61], 0                                      // 000000007B34: BEBC0180
	v_readlane_b32 s82, v3, 2                                  // 000000007B38: D2890052 00010503
	s_and_b32 s82, s82, 0xffffff                               // 000000007B40: 8652FF52 00FFFFFF
	s_cmp_lt_u32 s82, s66                                      // 000000007B48: BF0A4252
	s_cselect_b32 s20, s36, s60                                // 000000007B4C: 85143C24
	v_readlane_b32 s82, v3, 3                                  // 000000007B50: D2890052 00010703
	s_and_b32 s82, s82, 0xffffff                               // 000000007B58: 8652FF52 00FFFFFF
	s_cmp_lt_u32 s82, s66                                      // 000000007B60: BF0A4252
	s_cselect_b32 s21, s36, s60                                // 000000007B64: 85153C24
	s_mov_b64 exec, s[20:21]                                   // 000000007B68: BEFE0114
	global_atomic_add_f32 v6, v103, s[8:9] offset:8            // 000000007B6C: DD348008 00086706
	global_atomic_add_f32 v6, v107, s[8:9] offset:264          // 000000007B74: DD348108 00086B06
	global_atomic_add_f32 v6, v111, s[8:9] offset:520          // 000000007B7C: DD348208 00086F06
	global_atomic_add_f32 v6, v115, s[8:9] offset:776          // 000000007B84: DD348308 00087306
	s_mov_b64 exec, s[36:37]                                   // 000000007B8C: BEFE0124
	v_mov_b32_e32 v6, v44                                      // 000000007B90: 7E0C032C
	s_mov_b64 s[60:61], 0                                      // 000000007B94: BEBC0180
	v_readlane_b32 s82, v3, 4                                  // 000000007B98: D2890052 00010903
	s_and_b32 s82, s82, 0xffffff                               // 000000007BA0: 8652FF52 00FFFFFF
	s_cmp_lt_u32 s82, s66                                      // 000000007BA8: BF0A4252
	s_cselect_b32 s20, s36, s60                                // 000000007BAC: 85143C24
	v_readlane_b32 s82, v3, 5                                  // 000000007BB0: D2890052 00010B03
	s_and_b32 s82, s82, 0xffffff                               // 000000007BB8: 8652FF52 00FFFFFF
	s_cmp_lt_u32 s82, s66                                      // 000000007BC0: BF0A4252
	s_cselect_b32 s21, s36, s60                                // 000000007BC4: 85153C24
	s_mov_b64 exec, s[20:21]                                   // 000000007BC8: BEFE0114
	global_atomic_add_f32 v6, v118, s[8:9] offset:8            // 000000007BCC: DD348008 00087606
	global_atomic_add_f32 v6, v122, s[8:9] offset:264          // 000000007BD4: DD348108 00087A06
	global_atomic_add_f32 v6, v126, s[8:9] offset:520          // 000000007BDC: DD348208 00087E06
	global_atomic_add_f32 v6, v130, s[8:9] offset:776          // 000000007BE4: DD348308 00088206
	s_mov_b64 exec, s[36:37]                                   // 000000007BEC: BEFE0124
	v_mov_b32_e32 v6, v45                                      // 000000007BF0: 7E0C032D
	s_mov_b64 s[60:61], 0                                      // 000000007BF4: BEBC0180
	v_readlane_b32 s82, v3, 6                                  // 000000007BF8: D2890052 00010D03
	s_and_b32 s82, s82, 0xffffff                               // 000000007C00: 8652FF52 00FFFFFF
	s_cmp_lt_u32 s82, s66                                      // 000000007C08: BF0A4252
	s_cselect_b32 s20, s36, s60                                // 000000007C0C: 85143C24
	v_readlane_b32 s82, v3, 7                                  // 000000007C10: D2890052 00010F03
	s_and_b32 s82, s82, 0xffffff                               // 000000007C18: 8652FF52 00FFFFFF
	s_cmp_lt_u32 s82, s66                                      // 000000007C20: BF0A4252
	s_cselect_b32 s21, s36, s60                                // 000000007C24: 85153C24
	s_mov_b64 exec, s[20:21]                                   // 000000007C28: BEFE0114
	global_atomic_add_f32 v6, v119, s[8:9] offset:8            // 000000007C2C: DD348008 00087706
	global_atomic_add_f32 v6, v123, s[8:9] offset:264          // 000000007C34: DD348108 00087B06
	global_atomic_add_f32 v6, v127, s[8:9] offset:520          // 000000007C3C: DD348208 00087F06
	global_atomic_add_f32 v6, v131, s[8:9] offset:776          // 000000007C44: DD348308 00088306
	s_mov_b64 exec, s[36:37]                                   // 000000007C4C: BEFE0124
	v_mov_b32_e32 v6, v46                                      // 000000007C50: 7E0C032E
	s_mov_b64 s[60:61], 0                                      // 000000007C54: BEBC0180
	v_readlane_b32 s82, v3, 8                                  // 000000007C58: D2890052 00011103
	s_and_b32 s82, s82, 0xffffff                               // 000000007C60: 8652FF52 00FFFFFF
	s_cmp_lt_u32 s82, s66                                      // 000000007C68: BF0A4252
	s_cselect_b32 s20, s36, s60                                // 000000007C6C: 85143C24
	v_readlane_b32 s82, v3, 9                                  // 000000007C70: D2890052 00011303
	s_and_b32 s82, s82, 0xffffff                               // 000000007C78: 8652FF52 00FFFFFF
	s_cmp_lt_u32 s82, s66                                      // 000000007C80: BF0A4252
	s_cselect_b32 s21, s36, s60                                // 000000007C84: 85153C24
	s_mov_b64 exec, s[20:21]                                   // 000000007C88: BEFE0114
	global_atomic_add_f32 v6, v134, s[8:9] offset:8            // 000000007C8C: DD348008 00088606
	global_atomic_add_f32 v6, v138, s[8:9] offset:264          // 000000007C94: DD348108 00088A06
	global_atomic_add_f32 v6, v142, s[8:9] offset:520          // 000000007C9C: DD348208 00088E06
	global_atomic_add_f32 v6, v146, s[8:9] offset:776          // 000000007CA4: DD348308 00089206
	s_mov_b64 exec, s[36:37]                                   // 000000007CAC: BEFE0124
	v_mov_b32_e32 v6, v47                                      // 000000007CB0: 7E0C032F
	s_mov_b64 s[60:61], 0                                      // 000000007CB4: BEBC0180
	v_readlane_b32 s82, v3, 10                                 // 000000007CB8: D2890052 00011503
	s_and_b32 s82, s82, 0xffffff                               // 000000007CC0: 8652FF52 00FFFFFF
	s_cmp_lt_u32 s82, s66                                      // 000000007CC8: BF0A4252
	s_cselect_b32 s20, s36, s60                                // 000000007CCC: 85143C24
	v_readlane_b32 s82, v3, 11                                 // 000000007CD0: D2890052 00011703
	s_and_b32 s82, s82, 0xffffff                               // 000000007CD8: 8652FF52 00FFFFFF
	s_cmp_lt_u32 s82, s66                                      // 000000007CE0: BF0A4252
	s_cselect_b32 s21, s36, s60                                // 000000007CE4: 85153C24
	s_mov_b64 exec, s[20:21]                                   // 000000007CE8: BEFE0114
	global_atomic_add_f32 v6, v135, s[8:9] offset:8            // 000000007CEC: DD348008 00088706
	global_atomic_add_f32 v6, v139, s[8:9] offset:264          // 000000007CF4: DD348108 00088B06
	global_atomic_add_f32 v6, v143, s[8:9] offset:520          // 000000007CFC: DD348208 00088F06
	global_atomic_add_f32 v6, v147, s[8:9] offset:776          // 000000007D04: DD348308 00089306
	s_mov_b64 exec, s[36:37]                                   // 000000007D0C: BEFE0124
	s_branch label_272E                                        // 000000007D10: BF821266

0000000000007d14 <label_14C8>:
	s_waitcnt vmcnt(14) lgkmcnt(0)                             // 000000007D14: BF8C007E
	v_mfma_i32_16x16x32_i8 v[52:55], a[48:49], a[0:1], v[52:55]// 000000007D18: D3D70034 1CD20130
	buffer_load_dwordx4 a[112:115], v48, s[24:27], 0 offen     // 000000007D20: E05C1000 80867030
	v_mfma_i32_16x16x32_i8 v[52:55], a[50:51], a[2:3], v[52:55]// 000000007D28: D3D70034 1CD20532
	v_mfma_i32_16x16x32_i8 v[52:55], a[52:53], a[4:5], v[52:55]// 000000007D30: D3D70034 1CD20934
	v_mfma_i32_16x16x32_i8 v[52:55], a[54:55], a[6:7], v[52:55]// 000000007D38: D3D70034 1CD20D36
	v_mfma_i32_16x16x32_i8 v[64:67], a[56:57], a[0:1], v[64:67]// 000000007D40: D3D70040 1D020138
	buffer_load_dwordx4 a[116:119], v48, s[24:27], 0 offen offset:1024// 000000007D48: E05C1400 80867430
	v_mfma_i32_16x16x32_i8 v[64:67], a[58:59], a[2:3], v[64:67]// 000000007D50: D3D70040 1D02053A
	v_mfma_i32_16x16x32_i8 v[64:67], a[60:61], a[4:5], v[64:67]// 000000007D58: D3D70040 1D02093C
	v_mfma_i32_16x16x32_i8 v[64:67], a[62:63], a[6:7], v[64:67]// 000000007D60: D3D70040 1D020D3E
	v_mfma_i32_16x16x32_i8 v[76:79], a[64:65], a[0:1], v[76:79]// 000000007D68: D3D7004C 1D320140
	buffer_load_dwordx4 a[120:123], v49, s[24:27], 0 offen     // 000000007D70: E05C1000 80867831
	v_mfma_i32_16x16x32_i8 v[76:79], a[66:67], a[2:3], v[76:79]// 000000007D78: D3D7004C 1D320542
	v_mfma_i32_16x16x32_i8 v[76:79], a[68:69], a[4:5], v[76:79]// 000000007D80: D3D7004C 1D320944
	v_mfma_i32_16x16x32_i8 v[76:79], a[70:71], a[6:7], v[76:79]// 000000007D88: D3D7004C 1D320D46
	v_mfma_i32_16x16x32_i8 v[88:91], a[72:73], a[0:1], v[88:91]// 000000007D90: D3D70058 1D620148
	buffer_load_dwordx4 a[124:127], v49, s[24:27], 0 offen offset:1024// 000000007D98: E05C1400 80867C31
	v_mfma_i32_16x16x32_i8 v[88:91], a[74:75], a[2:3], v[88:91]// 000000007DA0: D3D70058 1D62054A
	v_mfma_i32_16x16x32_i8 v[88:91], a[76:77], a[4:5], v[88:91]// 000000007DA8: D3D70058 1D62094C
	v_mfma_i32_16x16x32_i8 v[88:91], a[78:79], a[6:7], v[88:91]// 000000007DB0: D3D70058 1D620D4E
	v_mfma_i32_16x16x32_i8 v[56:59], a[48:49], a[8:9], v[56:59]// 000000007DB8: D3D70038 1CE21130
	buffer_load_dwordx4 a[128:131], v50, s[24:27], 0 offen     // 000000007DC0: E05C1000 80868032
	v_mfma_i32_16x16x32_i8 v[56:59], a[50:51], a[10:11], v[56:59]// 000000007DC8: D3D70038 1CE21532
	v_mfma_i32_16x16x32_i8 v[56:59], a[52:53], a[12:13], v[56:59]// 000000007DD0: D3D70038 1CE21934
	v_mfma_i32_16x16x32_i8 v[56:59], a[54:55], a[14:15], v[56:59]// 000000007DD8: D3D70038 1CE21D36
	v_mfma_i32_16x16x32_i8 v[68:71], a[56:57], a[8:9], v[68:71]// 000000007DE0: D3D70044 1D121138
	buffer_load_dwordx4 a[132:135], v50, s[24:27], 0 offen offset:1024// 000000007DE8: E05C1400 80868432
	v_mfma_i32_16x16x32_i8 v[68:71], a[58:59], a[10:11], v[68:71]// 000000007DF0: D3D70044 1D12153A
	v_mfma_i32_16x16x32_i8 v[68:71], a[60:61], a[12:13], v[68:71]// 000000007DF8: D3D70044 1D12193C
	v_mfma_i32_16x16x32_i8 v[68:71], a[62:63], a[14:15], v[68:71]// 000000007E00: D3D70044 1D121D3E
	v_mfma_i32_16x16x32_i8 v[80:83], a[64:65], a[8:9], v[80:83]// 000000007E08: D3D70050 1D421140
	buffer_load_dwordx4 a[136:139], v51, s[24:27], 0 offen     // 000000007E10: E05C1000 80868833
	v_mfma_i32_16x16x32_i8 v[80:83], a[66:67], a[10:11], v[80:83]// 000000007E18: D3D70050 1D421542
	v_mfma_i32_16x16x32_i8 v[80:83], a[68:69], a[12:13], v[80:83]// 000000007E20: D3D70050 1D421944
	v_mfma_i32_16x16x32_i8 v[80:83], a[70:71], a[14:15], v[80:83]// 000000007E28: D3D70050 1D421D46
	v_mfma_i32_16x16x32_i8 v[92:95], a[72:73], a[8:9], v[92:95]// 000000007E30: D3D7005C 1D721148
	buffer_load_dwordx4 a[140:143], v51, s[24:27], 0 offen offset:1024// 000000007E38: E05C1400 80868C33
	buffer_load_dword v42, s[20:23], 0 offen lds               // 000000007E40: E0511000 8005002A
	s_add_u32 m0, 0x100, s50                                   // 000000007E48: 807C32FF 00000100
	v_mfma_i32_16x16x32_i8 v[92:95], a[74:75], a[10:11], v[92:95]// 000000007E50: D3D7005C 1D72154A
	v_mfma_i32_16x16x32_i8 v[92:95], a[76:77], a[12:13], v[92:95]// 000000007E58: D3D7005C 1D72194C
	buffer_load_dword v43, s[20:23], 0 offen lds               // 000000007E60: E0511000 8005002B
	s_add_u32 m0, 0x200, s50                                   // 000000007E68: 807C32FF 00000200
	v_mfma_i32_16x16x32_i8 v[92:95], a[78:79], a[14:15], v[92:95]// 000000007E70: D3D7005C 1D721D4E
	v_mfma_i32_16x16x32_i8 v[60:63], a[48:49], a[16:17], v[60:63]// 000000007E78: D3D7003C 1CF22130
	buffer_load_dword v44, s[20:23], 0 offen lds               // 000000007E80: E0511000 8005002C
	s_add_u32 m0, 0x300, s50                                   // 000000007E88: 807C32FF 00000300
	v_mfma_i32_16x16x32_i8 v[60:63], a[50:51], a[18:19], v[60:63]// 000000007E90: D3D7003C 1CF22532
	v_mfma_i32_16x16x32_i8 v[60:63], a[52:53], a[20:21], v[60:63]// 000000007E98: D3D7003C 1CF22934
	buffer_load_dword v45, s[20:23], 0 offen lds               // 000000007EA0: E0511000 8005002D
	s_add_u32 m0, 0x400, s50                                   // 000000007EA8: 807C32FF 00000400
	v_mfma_i32_16x16x32_i8 v[60:63], a[54:55], a[22:23], v[60:63]// 000000007EB0: D3D7003C 1CF22D36
	v_mfma_i32_16x16x32_i8 v[72:75], a[56:57], a[16:17], v[72:75]// 000000007EB8: D3D70048 1D222138
	buffer_load_dword v46, s[20:23], 0 offen lds               // 000000007EC0: E0511000 8005002E
	s_add_u32 m0, 0x500, s50                                   // 000000007EC8: 807C32FF 00000500
	v_mfma_i32_16x16x32_i8 v[72:75], a[58:59], a[18:19], v[72:75]// 000000007ED0: D3D70048 1D22253A
	v_mfma_i32_16x16x32_i8 v[72:75], a[60:61], a[20:21], v[72:75]// 000000007ED8: D3D70048 1D22293C
	buffer_load_dword v47, s[20:23], 0 offen lds               // 000000007EE0: E0511000 8005002F
	s_add_u32 m0, 0, s48                                       // 000000007EE8: 807C3080
	v_mfma_i32_16x16x32_i8 v[72:75], a[62:63], a[22:23], v[72:75]// 000000007EEC: D3D70048 1D222D3E
	v_mfma_i32_16x16x32_i8 v[84:87], a[64:65], a[16:17], v[84:87]// 000000007EF4: D3D70054 1D522140
	v_mfma_i32_16x16x32_i8 v[84:87], a[66:67], a[18:19], v[84:87]// 000000007EFC: D3D70054 1D522542
	v_mfma_i32_16x16x32_i8 v[84:87], a[68:69], a[20:21], v[84:87]// 000000007F04: D3D70054 1D522944
	v_mfma_i32_16x16x32_i8 v[84:87], a[70:71], a[22:23], v[84:87]// 000000007F0C: D3D70054 1D522D46
	v_mfma_i32_16x16x32_i8 v[96:99], a[72:73], a[16:17], v[96:99]// 000000007F14: D3D70060 1D822148
	v_mfma_i32_16x16x32_i8 v[96:99], a[74:75], a[18:19], v[96:99]// 000000007F1C: D3D70060 1D82254A
	v_mfma_i32_16x16x32_i8 v[96:99], a[76:77], a[20:21], v[96:99]// 000000007F24: D3D70060 1D82294C
	v_mfma_i32_16x16x32_i8 v[96:99], a[78:79], a[22:23], v[96:99]// 000000007F2C: D3D70060 1D822D4E
	s_waitcnt vmcnt(14)                                        // 000000007F34: BF8C0F7E
	s_barrier                                                  // 000000007F38: BF8A0000
	v_mfma_i32_16x16x32_i8 v[100:103], a[80:81], a[0:1], v[100:103]// 000000007F3C: D3D70064 1D920150
	buffer_load_dwordx4 a[48:51], v48, s[84:87], 0 offen       // 000000007F44: E05C1000 80953030
	v_mfma_i32_16x16x32_i8 v[100:103], a[82:83], a[2:3], v[100:103]// 000000007F4C: D3D70064 1D920552
	v_mfma_i32_16x16x32_i8 v[100:103], a[84:85], a[4:5], v[100:103]// 000000007F54: D3D70064 1D920954
	ds_read_b128 a[24:27], v2 offset:6272                      // 000000007F5C: DBFE1880 18000002
	ds_read_b128 a[28:31], v2 offset:6336                      // 000000007F64: DBFE18C0 1C000002
	v_mfma_i32_16x16x32_i8 v[100:103], a[86:87], a[6:7], v[100:103]// 000000007F6C: D3D70064 1D920D56
	v_mfma_i32_16x16x32_i8 v[112:115], a[88:89], a[0:1], v[112:115]// 000000007F74: D3D70070 1DC20158
	buffer_load_dwordx4 a[52:55], v48, s[84:87], 0 offen offset:1024// 000000007F7C: E05C1400 80953430
	v_mfma_i32_16x16x32_i8 v[112:115], a[90:91], a[2:3], v[112:115]// 000000007F84: D3D70070 1DC2055A
	v_mfma_i32_16x16x32_i8 v[112:115], a[92:93], a[4:5], v[112:115]// 000000007F8C: D3D70070 1DC2095C
	ds_read_b128 a[32:35], v2 offset:6784                      // 000000007F94: DBFE1A80 20000002
	ds_read_b128 a[36:39], v2 offset:6848                      // 000000007F9C: DBFE1AC0 24000002
	v_mfma_i32_16x16x32_i8 v[112:115], a[94:95], a[6:7], v[112:115]// 000000007FA4: D3D70070 1DC20D5E
	v_mfma_i32_16x16x32_i8 v[124:127], a[96:97], a[0:1], v[124:127]// 000000007FAC: D3D7007C 1DF20160
	buffer_load_dwordx4 a[56:59], v49, s[84:87], 0 offen       // 000000007FB4: E05C1000 80953831
	v_mfma_i32_16x16x32_i8 v[124:127], a[98:99], a[2:3], v[124:127]// 000000007FBC: D3D7007C 1DF20562
	v_mfma_i32_16x16x32_i8 v[124:127], a[100:101], a[4:5], v[124:127]// 000000007FC4: D3D7007C 1DF20964
	ds_read_b128 a[40:43], v2 offset:7296                      // 000000007FCC: DBFE1C80 28000002
	ds_read_b128 a[44:47], v2 offset:7360                      // 000000007FD4: DBFE1CC0 2C000002
	v_mfma_i32_16x16x32_i8 v[124:127], a[102:103], a[6:7], v[124:127]// 000000007FDC: D3D7007C 1DF20D66
	v_mfma_i32_16x16x32_i8 v[136:139], a[104:105], a[0:1], v[136:139]// 000000007FE4: D3D70088 1E220168
	buffer_load_dwordx4 a[60:63], v49, s[84:87], 0 offen offset:1024// 000000007FEC: E05C1400 80953C31
	v_mfma_i32_16x16x32_i8 v[136:139], a[106:107], a[2:3], v[136:139]// 000000007FF4: D3D70088 1E22056A
	v_mfma_i32_16x16x32_i8 v[136:139], a[108:109], a[4:5], v[136:139]// 000000007FFC: D3D70088 1E22096C
	v_mfma_i32_16x16x32_i8 v[136:139], a[110:111], a[6:7], v[136:139]// 000000008004: D3D70088 1E220D6E
	v_mfma_i32_16x16x32_i8 v[104:107], a[80:81], a[8:9], v[104:107]// 00000000800C: D3D70068 1DA21150
	buffer_load_dwordx4 a[64:67], v50, s[84:87], 0 offen       // 000000008014: E05C1000 80954032
	v_mfma_i32_16x16x32_i8 v[104:107], a[82:83], a[10:11], v[104:107]// 00000000801C: D3D70068 1DA21552
	v_mfma_i32_16x16x32_i8 v[104:107], a[84:85], a[12:13], v[104:107]// 000000008024: D3D70068 1DA21954
	v_mfma_i32_16x16x32_i8 v[104:107], a[86:87], a[14:15], v[104:107]// 00000000802C: D3D70068 1DA21D56
	v_mfma_i32_16x16x32_i8 v[116:119], a[88:89], a[8:9], v[116:119]// 000000008034: D3D70074 1DD21158
	buffer_load_dwordx4 a[68:71], v50, s[84:87], 0 offen offset:1024// 00000000803C: E05C1400 80954432
	v_mfma_i32_16x16x32_i8 v[116:119], a[90:91], a[10:11], v[116:119]// 000000008044: D3D70074 1DD2155A
	v_mfma_i32_16x16x32_i8 v[116:119], a[92:93], a[12:13], v[116:119]// 00000000804C: D3D70074 1DD2195C
	v_mfma_i32_16x16x32_i8 v[116:119], a[94:95], a[14:15], v[116:119]// 000000008054: D3D70074 1DD21D5E
	v_mfma_i32_16x16x32_i8 v[128:131], a[96:97], a[8:9], v[128:131]// 00000000805C: D3D70080 1E021160
	buffer_load_dwordx4 a[72:75], v51, s[84:87], 0 offen       // 000000008064: E05C1000 80954833
	v_mfma_i32_16x16x32_i8 v[128:131], a[98:99], a[10:11], v[128:131]// 00000000806C: D3D70080 1E021562
	v_mfma_i32_16x16x32_i8 v[128:131], a[100:101], a[12:13], v[128:131]// 000000008074: D3D70080 1E021964
	v_mfma_i32_16x16x32_i8 v[128:131], a[102:103], a[14:15], v[128:131]// 00000000807C: D3D70080 1E021D66
	v_mfma_i32_16x16x32_i8 v[140:143], a[104:105], a[8:9], v[140:143]// 000000008084: D3D7008C 1E321168
	buffer_load_dwordx4 a[76:79], v51, s[84:87], 0 offen offset:1024// 00000000808C: E05C1400 80954C33
	v_mfma_i32_16x16x32_i8 v[140:143], a[106:107], a[10:11], v[140:143]// 000000008094: D3D7008C 1E32156A
	v_mfma_i32_16x16x32_i8 v[140:143], a[108:109], a[12:13], v[140:143]// 00000000809C: D3D7008C 1E32196C
	v_mfma_i32_16x16x32_i8 v[140:143], a[110:111], a[14:15], v[140:143]// 0000000080A4: D3D7008C 1E321D6E
	v_mfma_i32_16x16x32_i8 v[108:111], a[80:81], a[16:17], v[108:111]// 0000000080AC: D3D7006C 1DB22150
	v_mfma_i32_16x16x32_i8 v[108:111], a[82:83], a[18:19], v[108:111]// 0000000080B4: D3D7006C 1DB22552
	v_mfma_i32_16x16x32_i8 v[108:111], a[84:85], a[20:21], v[108:111]// 0000000080BC: D3D7006C 1DB22954
	v_mfma_i32_16x16x32_i8 v[108:111], a[86:87], a[22:23], v[108:111]// 0000000080C4: D3D7006C 1DB22D56
	v_mfma_i32_16x16x32_i8 v[120:123], a[88:89], a[16:17], v[120:123]// 0000000080CC: D3D70078 1DE22158
	v_mfma_i32_16x16x32_i8 v[120:123], a[90:91], a[18:19], v[120:123]// 0000000080D4: D3D70078 1DE2255A
	v_mfma_i32_16x16x32_i8 v[120:123], a[92:93], a[20:21], v[120:123]// 0000000080DC: D3D70078 1DE2295C
	v_mfma_i32_16x16x32_i8 v[120:123], a[94:95], a[22:23], v[120:123]// 0000000080E4: D3D70078 1DE22D5E
	v_mfma_i32_16x16x32_i8 v[132:135], a[96:97], a[16:17], v[132:135]// 0000000080EC: D3D70084 1E122160
	s_add_u32 s60, 0x180, s80                                  // 0000000080F4: 803C50FF 00000180
	s_cmp_lt_u32 s60, s81                                      // 0000000080FC: BF0A513C
	s_cselect_b32 s57, s57, 0                                  // 000000008100: 85398039
	v_mfma_i32_16x16x32_i8 v[132:135], a[98:99], a[18:19], v[132:135]// 000000008104: D3D70084 1E122562
	s_add_u32 s60, 0x100, s80                                  // 00000000810C: 803C50FF 00000100
	s_cmp_lt_u32 s60, s81                                      // 000000008114: BF0A513C
	s_cselect_b32 s58, s58, 0                                  // 000000008118: 853A803A
	v_mfma_i32_16x16x32_i8 v[132:135], a[100:101], a[20:21], v[132:135]// 00000000811C: D3D70084 1E122964
	s_add_u32 s60, 0x100, s80                                  // 000000008124: 803C50FF 00000100
	s_cmp_lt_u32 s60, s81                                      // 00000000812C: BF0A513C
	s_cselect_b32 s83, s83, 0                                  // 000000008130: 85538053
	v_mfma_i32_16x16x32_i8 v[132:135], a[102:103], a[22:23], v[132:135]// 000000008134: D3D70084 1E122D66
	s_add_u32 s24, s58, s24                                    // 00000000813C: 8018183A
	s_addc_u32 s25, 0, s25                                     // 000000008140: 82191980
	v_mfma_i32_16x16x32_i8 v[144:147], a[104:105], a[16:17], v[144:147]// 000000008144: D3D70090 1E422168
	s_add_u32 s20, s57, s20                                    // 00000000814C: 80141439
	s_addc_u32 s21, 0, s21                                     // 000000008150: 82151580
	v_mfma_i32_16x16x32_i8 v[144:147], a[106:107], a[18:19], v[144:147]// 000000008154: D3D70090 1E42256A
	s_add_u32 s84, s83, s84                                    // 00000000815C: 80545453
	s_addc_u32 s85, 0, s85                                     // 000000008160: 82555580
	v_mfma_i32_16x16x32_i8 v[144:147], a[108:109], a[20:21], v[144:147]// 000000008164: D3D70090 1E42296C
	v_mfma_i32_16x16x32_i8 v[144:147], a[110:111], a[22:23], v[144:147]// 00000000816C: D3D70090 1E422D6E
	s_addk_i32 s80, 0x80                                       // 000000008174: B7500080
	s_cmp_lt_i32 s80, s81                                      // 000000008178: BF045150
	s_cbranch_scc0 label_1B6B                                  // 00000000817C: BF840588
	s_waitcnt vmcnt(14) lgkmcnt(0)                             // 000000008180: BF8C007E
	v_mfma_i32_16x16x32_i8 v[52:55], a[112:113], a[24:25], v[52:55]// 000000008184: D3D70034 1CD23170
	buffer_load_dwordx4 a[80:83], v48, s[24:27], 0 offen       // 00000000818C: E05C1000 80865030
	v_mfma_i32_16x16x32_i8 v[52:55], a[114:115], a[26:27], v[52:55]// 000000008194: D3D70034 1CD23572
	v_mfma_i32_16x16x32_i8 v[52:55], a[116:117], a[28:29], v[52:55]// 00000000819C: D3D70034 1CD23974
	v_mfma_i32_16x16x32_i8 v[52:55], a[118:119], a[30:31], v[52:55]// 0000000081A4: D3D70034 1CD23D76
	v_mfma_i32_16x16x32_i8 v[64:67], a[120:121], a[24:25], v[64:67]// 0000000081AC: D3D70040 1D023178
	buffer_load_dwordx4 a[84:87], v48, s[24:27], 0 offen offset:1024// 0000000081B4: E05C1400 80865430
	v_mfma_i32_16x16x32_i8 v[64:67], a[122:123], a[26:27], v[64:67]// 0000000081BC: D3D70040 1D02357A
	v_mfma_i32_16x16x32_i8 v[64:67], a[124:125], a[28:29], v[64:67]// 0000000081C4: D3D70040 1D02397C
	v_mfma_i32_16x16x32_i8 v[64:67], a[126:127], a[30:31], v[64:67]// 0000000081CC: D3D70040 1D023D7E
	v_mfma_i32_16x16x32_i8 v[76:79], a[128:129], a[24:25], v[76:79]// 0000000081D4: D3D7004C 1D323180
	buffer_load_dwordx4 a[88:91], v49, s[24:27], 0 offen       // 0000000081DC: E05C1000 80865831
	v_mfma_i32_16x16x32_i8 v[76:79], a[130:131], a[26:27], v[76:79]// 0000000081E4: D3D7004C 1D323582
	v_mfma_i32_16x16x32_i8 v[76:79], a[132:133], a[28:29], v[76:79]// 0000000081EC: D3D7004C 1D323984
	v_mfma_i32_16x16x32_i8 v[76:79], a[134:135], a[30:31], v[76:79]// 0000000081F4: D3D7004C 1D323D86
	v_mfma_i32_16x16x32_i8 v[88:91], a[136:137], a[24:25], v[88:91]// 0000000081FC: D3D70058 1D623188
	buffer_load_dwordx4 a[92:95], v49, s[24:27], 0 offen offset:1024// 000000008204: E05C1400 80865C31
	v_mfma_i32_16x16x32_i8 v[88:91], a[138:139], a[26:27], v[88:91]// 00000000820C: D3D70058 1D62358A
	v_mfma_i32_16x16x32_i8 v[88:91], a[140:141], a[28:29], v[88:91]// 000000008214: D3D70058 1D62398C
	v_mfma_i32_16x16x32_i8 v[88:91], a[142:143], a[30:31], v[88:91]// 00000000821C: D3D70058 1D623D8E
	v_mfma_i32_16x16x32_i8 v[56:59], a[112:113], a[32:33], v[56:59]// 000000008224: D3D70038 1CE24170
	buffer_load_dwordx4 a[96:99], v50, s[24:27], 0 offen       // 00000000822C: E05C1000 80866032
	v_mfma_i32_16x16x32_i8 v[56:59], a[114:115], a[34:35], v[56:59]// 000000008234: D3D70038 1CE24572
	v_mfma_i32_16x16x32_i8 v[56:59], a[116:117], a[36:37], v[56:59]// 00000000823C: D3D70038 1CE24974
	v_mfma_i32_16x16x32_i8 v[56:59], a[118:119], a[38:39], v[56:59]// 000000008244: D3D70038 1CE24D76
	v_mfma_i32_16x16x32_i8 v[68:71], a[120:121], a[32:33], v[68:71]// 00000000824C: D3D70044 1D124178
	buffer_load_dwordx4 a[100:103], v50, s[24:27], 0 offen offset:1024// 000000008254: E05C1400 80866432
	v_mfma_i32_16x16x32_i8 v[68:71], a[122:123], a[34:35], v[68:71]// 00000000825C: D3D70044 1D12457A
	v_mfma_i32_16x16x32_i8 v[68:71], a[124:125], a[36:37], v[68:71]// 000000008264: D3D70044 1D12497C
	v_mfma_i32_16x16x32_i8 v[68:71], a[126:127], a[38:39], v[68:71]// 00000000826C: D3D70044 1D124D7E
	v_mfma_i32_16x16x32_i8 v[80:83], a[128:129], a[32:33], v[80:83]// 000000008274: D3D70050 1D424180
	buffer_load_dwordx4 a[104:107], v51, s[24:27], 0 offen     // 00000000827C: E05C1000 80866833
	v_mfma_i32_16x16x32_i8 v[80:83], a[130:131], a[34:35], v[80:83]// 000000008284: D3D70050 1D424582
	v_mfma_i32_16x16x32_i8 v[80:83], a[132:133], a[36:37], v[80:83]// 00000000828C: D3D70050 1D424984
	v_mfma_i32_16x16x32_i8 v[80:83], a[134:135], a[38:39], v[80:83]// 000000008294: D3D70050 1D424D86
	v_mfma_i32_16x16x32_i8 v[92:95], a[136:137], a[32:33], v[92:95]// 00000000829C: D3D7005C 1D724188
	buffer_load_dwordx4 a[108:111], v51, s[24:27], 0 offen offset:1024// 0000000082A4: E05C1400 80866C33
	buffer_load_dword v42, s[20:23], 0 offen lds               // 0000000082AC: E0511000 8005002A
	s_add_u32 m0, 0x100, s48                                   // 0000000082B4: 807C30FF 00000100
	v_mfma_i32_16x16x32_i8 v[92:95], a[138:139], a[34:35], v[92:95]// 0000000082BC: D3D7005C 1D72458A
	v_mfma_i32_16x16x32_i8 v[92:95], a[140:141], a[36:37], v[92:95]// 0000000082C4: D3D7005C 1D72498C
	buffer_load_dword v43, s[20:23], 0 offen lds               // 0000000082CC: E0511000 8005002B
	s_add_u32 m0, 0x200, s48                                   // 0000000082D4: 807C30FF 00000200
	v_mfma_i32_16x16x32_i8 v[92:95], a[142:143], a[38:39], v[92:95]// 0000000082DC: D3D7005C 1D724D8E
	v_mfma_i32_16x16x32_i8 v[60:63], a[112:113], a[40:41], v[60:63]// 0000000082E4: D3D7003C 1CF25170
	buffer_load_dword v44, s[20:23], 0 offen lds               // 0000000082EC: E0511000 8005002C
	s_add_u32 m0, 0x300, s48                                   // 0000000082F4: 807C30FF 00000300
	v_mfma_i32_16x16x32_i8 v[60:63], a[114:115], a[42:43], v[60:63]// 0000000082FC: D3D7003C 1CF25572
	v_mfma_i32_16x16x32_i8 v[60:63], a[116:117], a[44:45], v[60:63]// 000000008304: D3D7003C 1CF25974
	buffer_load_dword v45, s[20:23], 0 offen lds               // 00000000830C: E0511000 8005002D
	s_add_u32 m0, 0x400, s48                                   // 000000008314: 807C30FF 00000400
	v_mfma_i32_16x16x32_i8 v[60:63], a[118:119], a[46:47], v[60:63]// 00000000831C: D3D7003C 1CF25D76
	v_mfma_i32_16x16x32_i8 v[72:75], a[120:121], a[40:41], v[72:75]// 000000008324: D3D70048 1D225178
	buffer_load_dword v46, s[20:23], 0 offen lds               // 00000000832C: E0511000 8005002E
	s_add_u32 m0, 0x500, s48                                   // 000000008334: 807C30FF 00000500
	v_mfma_i32_16x16x32_i8 v[72:75], a[122:123], a[42:43], v[72:75]// 00000000833C: D3D70048 1D22557A
	v_mfma_i32_16x16x32_i8 v[72:75], a[124:125], a[44:45], v[72:75]// 000000008344: D3D70048 1D22597C
	buffer_load_dword v47, s[20:23], 0 offen lds               // 00000000834C: E0511000 8005002F
	s_add_u32 m0, 0, s49                                       // 000000008354: 807C3180
	v_mfma_i32_16x16x32_i8 v[72:75], a[126:127], a[46:47], v[72:75]// 000000008358: D3D70048 1D225D7E
	v_mfma_i32_16x16x32_i8 v[84:87], a[128:129], a[40:41], v[84:87]// 000000008360: D3D70054 1D525180
	v_mfma_i32_16x16x32_i8 v[84:87], a[130:131], a[42:43], v[84:87]// 000000008368: D3D70054 1D525582
	v_mfma_i32_16x16x32_i8 v[84:87], a[132:133], a[44:45], v[84:87]// 000000008370: D3D70054 1D525984
	v_mfma_i32_16x16x32_i8 v[84:87], a[134:135], a[46:47], v[84:87]// 000000008378: D3D70054 1D525D86
	v_mfma_i32_16x16x32_i8 v[96:99], a[136:137], a[40:41], v[96:99]// 000000008380: D3D70060 1D825188
	v_mfma_i32_16x16x32_i8 v[96:99], a[138:139], a[42:43], v[96:99]// 000000008388: D3D70060 1D82558A
	v_mfma_i32_16x16x32_i8 v[96:99], a[140:141], a[44:45], v[96:99]// 000000008390: D3D70060 1D82598C
	v_mfma_i32_16x16x32_i8 v[96:99], a[142:143], a[46:47], v[96:99]// 000000008398: D3D70060 1D825D8E
	s_waitcnt vmcnt(14)                                        // 0000000083A0: BF8C0F7E
	s_barrier                                                  // 0000000083A4: BF8A0000
	v_mfma_i32_16x16x32_i8 v[100:103], a[48:49], a[24:25], v[100:103]// 0000000083A8: D3D70064 1D923130
	buffer_load_dwordx4 a[112:115], v48, s[84:87], 0 offen     // 0000000083B0: E05C1000 80957030
	v_mfma_i32_16x16x32_i8 v[100:103], a[50:51], a[26:27], v[100:103]// 0000000083B8: D3D70064 1D923532
	v_mfma_i32_16x16x32_i8 v[100:103], a[52:53], a[28:29], v[100:103]// 0000000083C0: D3D70064 1D923934
	ds_read_b128 a[0:3], v2 offset:12544                       // 0000000083C8: DBFE3100 00000002
	ds_read_b128 a[4:7], v2 offset:12608                       // 0000000083D0: DBFE3140 04000002
	v_mfma_i32_16x16x32_i8 v[100:103], a[54:55], a[30:31], v[100:103]// 0000000083D8: D3D70064 1D923D36
	v_mfma_i32_16x16x32_i8 v[112:115], a[56:57], a[24:25], v[112:115]// 0000000083E0: D3D70070 1DC23138
	buffer_load_dwordx4 a[116:119], v48, s[84:87], 0 offen offset:1024// 0000000083E8: E05C1400 80957430
	v_mfma_i32_16x16x32_i8 v[112:115], a[58:59], a[26:27], v[112:115]// 0000000083F0: D3D70070 1DC2353A
	v_mfma_i32_16x16x32_i8 v[112:115], a[60:61], a[28:29], v[112:115]// 0000000083F8: D3D70070 1DC2393C
	ds_read_b128 a[8:11], v2 offset:13056                      // 000000008400: DBFE3300 08000002
	ds_read_b128 a[12:15], v2 offset:13120                     // 000000008408: DBFE3340 0C000002
	v_mfma_i32_16x16x32_i8 v[112:115], a[62:63], a[30:31], v[112:115]// 000000008410: D3D70070 1DC23D3E
	v_mfma_i32_16x16x32_i8 v[124:127], a[64:65], a[24:25], v[124:127]// 000000008418: D3D7007C 1DF23140
	buffer_load_dwordx4 a[120:123], v49, s[84:87], 0 offen     // 000000008420: E05C1000 80957831
	v_mfma_i32_16x16x32_i8 v[124:127], a[66:67], a[26:27], v[124:127]// 000000008428: D3D7007C 1DF23542
	v_mfma_i32_16x16x32_i8 v[124:127], a[68:69], a[28:29], v[124:127]// 000000008430: D3D7007C 1DF23944
	ds_read_b128 a[16:19], v2 offset:13568                     // 000000008438: DBFE3500 10000002
	ds_read_b128 a[20:23], v2 offset:13632                     // 000000008440: DBFE3540 14000002
	v_mfma_i32_16x16x32_i8 v[124:127], a[70:71], a[30:31], v[124:127]// 000000008448: D3D7007C 1DF23D46
	v_mfma_i32_16x16x32_i8 v[136:139], a[72:73], a[24:25], v[136:139]// 000000008450: D3D70088 1E223148
	buffer_load_dwordx4 a[124:127], v49, s[84:87], 0 offen offset:1024// 000000008458: E05C1400 80957C31
	v_mfma_i32_16x16x32_i8 v[136:139], a[74:75], a[26:27], v[136:139]// 000000008460: D3D70088 1E22354A
	v_mfma_i32_16x16x32_i8 v[136:139], a[76:77], a[28:29], v[136:139]// 000000008468: D3D70088 1E22394C
	v_mfma_i32_16x16x32_i8 v[136:139], a[78:79], a[30:31], v[136:139]// 000000008470: D3D70088 1E223D4E
	v_mfma_i32_16x16x32_i8 v[104:107], a[48:49], a[32:33], v[104:107]// 000000008478: D3D70068 1DA24130
	buffer_load_dwordx4 a[128:131], v50, s[84:87], 0 offen     // 000000008480: E05C1000 80958032
	v_mfma_i32_16x16x32_i8 v[104:107], a[50:51], a[34:35], v[104:107]// 000000008488: D3D70068 1DA24532
	v_mfma_i32_16x16x32_i8 v[104:107], a[52:53], a[36:37], v[104:107]// 000000008490: D3D70068 1DA24934
	v_mfma_i32_16x16x32_i8 v[104:107], a[54:55], a[38:39], v[104:107]// 000000008498: D3D70068 1DA24D36
	v_mfma_i32_16x16x32_i8 v[116:119], a[56:57], a[32:33], v[116:119]// 0000000084A0: D3D70074 1DD24138
	buffer_load_dwordx4 a[132:135], v50, s[84:87], 0 offen offset:1024// 0000000084A8: E05C1400 80958432
	v_mfma_i32_16x16x32_i8 v[116:119], a[58:59], a[34:35], v[116:119]// 0000000084B0: D3D70074 1DD2453A
	v_mfma_i32_16x16x32_i8 v[116:119], a[60:61], a[36:37], v[116:119]// 0000000084B8: D3D70074 1DD2493C
	v_mfma_i32_16x16x32_i8 v[116:119], a[62:63], a[38:39], v[116:119]// 0000000084C0: D3D70074 1DD24D3E
	v_mfma_i32_16x16x32_i8 v[128:131], a[64:65], a[32:33], v[128:131]// 0000000084C8: D3D70080 1E024140
	buffer_load_dwordx4 a[136:139], v51, s[84:87], 0 offen     // 0000000084D0: E05C1000 80958833
	v_mfma_i32_16x16x32_i8 v[128:131], a[66:67], a[34:35], v[128:131]// 0000000084D8: D3D70080 1E024542
	v_mfma_i32_16x16x32_i8 v[128:131], a[68:69], a[36:37], v[128:131]// 0000000084E0: D3D70080 1E024944
	v_mfma_i32_16x16x32_i8 v[128:131], a[70:71], a[38:39], v[128:131]// 0000000084E8: D3D70080 1E024D46
	v_mfma_i32_16x16x32_i8 v[140:143], a[72:73], a[32:33], v[140:143]// 0000000084F0: D3D7008C 1E324148
	buffer_load_dwordx4 a[140:143], v51, s[84:87], 0 offen offset:1024// 0000000084F8: E05C1400 80958C33
	v_mfma_i32_16x16x32_i8 v[140:143], a[74:75], a[34:35], v[140:143]// 000000008500: D3D7008C 1E32454A
	v_mfma_i32_16x16x32_i8 v[140:143], a[76:77], a[36:37], v[140:143]// 000000008508: D3D7008C 1E32494C
	v_mfma_i32_16x16x32_i8 v[140:143], a[78:79], a[38:39], v[140:143]// 000000008510: D3D7008C 1E324D4E
	v_mfma_i32_16x16x32_i8 v[108:111], a[48:49], a[40:41], v[108:111]// 000000008518: D3D7006C 1DB25130
	v_mfma_i32_16x16x32_i8 v[108:111], a[50:51], a[42:43], v[108:111]// 000000008520: D3D7006C 1DB25532
	v_mfma_i32_16x16x32_i8 v[108:111], a[52:53], a[44:45], v[108:111]// 000000008528: D3D7006C 1DB25934
	v_mfma_i32_16x16x32_i8 v[108:111], a[54:55], a[46:47], v[108:111]// 000000008530: D3D7006C 1DB25D36
	v_mfma_i32_16x16x32_i8 v[120:123], a[56:57], a[40:41], v[120:123]// 000000008538: D3D70078 1DE25138
	v_mfma_i32_16x16x32_i8 v[120:123], a[58:59], a[42:43], v[120:123]// 000000008540: D3D70078 1DE2553A
	v_mfma_i32_16x16x32_i8 v[120:123], a[60:61], a[44:45], v[120:123]// 000000008548: D3D70078 1DE2593C
	v_mfma_i32_16x16x32_i8 v[120:123], a[62:63], a[46:47], v[120:123]// 000000008550: D3D70078 1DE25D3E
	v_mfma_i32_16x16x32_i8 v[132:135], a[64:65], a[40:41], v[132:135]// 000000008558: D3D70084 1E125140
	s_add_u32 s60, 0x180, s80                                  // 000000008560: 803C50FF 00000180
	s_cmp_lt_u32 s60, s81                                      // 000000008568: BF0A513C
	s_cselect_b32 s57, s57, 0                                  // 00000000856C: 85398039
	v_mfma_i32_16x16x32_i8 v[132:135], a[66:67], a[42:43], v[132:135]// 000000008570: D3D70084 1E125542
	s_add_u32 s60, 0x100, s80                                  // 000000008578: 803C50FF 00000100
	s_cmp_lt_u32 s60, s81                                      // 000000008580: BF0A513C
	s_cselect_b32 s58, s58, 0                                  // 000000008584: 853A803A
	v_mfma_i32_16x16x32_i8 v[132:135], a[68:69], a[44:45], v[132:135]// 000000008588: D3D70084 1E125944
	s_add_u32 s60, 0x100, s80                                  // 000000008590: 803C50FF 00000100
	s_cmp_lt_u32 s60, s81                                      // 000000008598: BF0A513C
	s_cselect_b32 s83, s83, 0                                  // 00000000859C: 85538053
	v_mfma_i32_16x16x32_i8 v[132:135], a[70:71], a[46:47], v[132:135]// 0000000085A0: D3D70084 1E125D46
	s_add_u32 s24, s58, s24                                    // 0000000085A8: 8018183A
	s_addc_u32 s25, 0, s25                                     // 0000000085AC: 82191980
	v_mfma_i32_16x16x32_i8 v[144:147], a[72:73], a[40:41], v[144:147]// 0000000085B0: D3D70090 1E425148
	s_add_u32 s20, s57, s20                                    // 0000000085B8: 80141439
	s_addc_u32 s21, 0, s21                                     // 0000000085BC: 82151580
	v_mfma_i32_16x16x32_i8 v[144:147], a[74:75], a[42:43], v[144:147]// 0000000085C0: D3D70090 1E42554A
	s_add_u32 s84, s83, s84                                    // 0000000085C8: 80545453
	s_addc_u32 s85, 0, s85                                     // 0000000085CC: 82555580
	v_mfma_i32_16x16x32_i8 v[144:147], a[76:77], a[44:45], v[144:147]// 0000000085D0: D3D70090 1E42594C
	v_mfma_i32_16x16x32_i8 v[144:147], a[78:79], a[46:47], v[144:147]// 0000000085D8: D3D70090 1E425D4E
	s_addk_i32 s80, 0x80                                       // 0000000085E0: B7500080
	s_cmp_lt_i32 s80, s81                                      // 0000000085E4: BF045150
	s_cbranch_scc0 label_1B6B                                  // 0000000085E8: BF84046D
	s_waitcnt vmcnt(14) lgkmcnt(0)                             // 0000000085EC: BF8C007E
	v_mfma_i32_16x16x32_i8 v[52:55], a[80:81], a[0:1], v[52:55]// 0000000085F0: D3D70034 1CD20150
	buffer_load_dwordx4 a[48:51], v48, s[24:27], 0 offen       // 0000000085F8: E05C1000 80863030
	v_mfma_i32_16x16x32_i8 v[52:55], a[82:83], a[2:3], v[52:55]// 000000008600: D3D70034 1CD20552
	v_mfma_i32_16x16x32_i8 v[52:55], a[84:85], a[4:5], v[52:55]// 000000008608: D3D70034 1CD20954
	v_mfma_i32_16x16x32_i8 v[52:55], a[86:87], a[6:7], v[52:55]// 000000008610: D3D70034 1CD20D56
	v_mfma_i32_16x16x32_i8 v[64:67], a[88:89], a[0:1], v[64:67]// 000000008618: D3D70040 1D020158
	buffer_load_dwordx4 a[52:55], v48, s[24:27], 0 offen offset:1024// 000000008620: E05C1400 80863430
	v_mfma_i32_16x16x32_i8 v[64:67], a[90:91], a[2:3], v[64:67]// 000000008628: D3D70040 1D02055A
	v_mfma_i32_16x16x32_i8 v[64:67], a[92:93], a[4:5], v[64:67]// 000000008630: D3D70040 1D02095C
	v_mfma_i32_16x16x32_i8 v[64:67], a[94:95], a[6:7], v[64:67]// 000000008638: D3D70040 1D020D5E
	v_mfma_i32_16x16x32_i8 v[76:79], a[96:97], a[0:1], v[76:79]// 000000008640: D3D7004C 1D320160
	buffer_load_dwordx4 a[56:59], v49, s[24:27], 0 offen       // 000000008648: E05C1000 80863831
	v_mfma_i32_16x16x32_i8 v[76:79], a[98:99], a[2:3], v[76:79]// 000000008650: D3D7004C 1D320562
	v_mfma_i32_16x16x32_i8 v[76:79], a[100:101], a[4:5], v[76:79]// 000000008658: D3D7004C 1D320964
	v_mfma_i32_16x16x32_i8 v[76:79], a[102:103], a[6:7], v[76:79]// 000000008660: D3D7004C 1D320D66
	v_mfma_i32_16x16x32_i8 v[88:91], a[104:105], a[0:1], v[88:91]// 000000008668: D3D70058 1D620168
	buffer_load_dwordx4 a[60:63], v49, s[24:27], 0 offen offset:1024// 000000008670: E05C1400 80863C31
	v_mfma_i32_16x16x32_i8 v[88:91], a[106:107], a[2:3], v[88:91]// 000000008678: D3D70058 1D62056A
	v_mfma_i32_16x16x32_i8 v[88:91], a[108:109], a[4:5], v[88:91]// 000000008680: D3D70058 1D62096C
	v_mfma_i32_16x16x32_i8 v[88:91], a[110:111], a[6:7], v[88:91]// 000000008688: D3D70058 1D620D6E
	v_mfma_i32_16x16x32_i8 v[56:59], a[80:81], a[8:9], v[56:59]// 000000008690: D3D70038 1CE21150
	buffer_load_dwordx4 a[64:67], v50, s[24:27], 0 offen       // 000000008698: E05C1000 80864032
	v_mfma_i32_16x16x32_i8 v[56:59], a[82:83], a[10:11], v[56:59]// 0000000086A0: D3D70038 1CE21552
	v_mfma_i32_16x16x32_i8 v[56:59], a[84:85], a[12:13], v[56:59]// 0000000086A8: D3D70038 1CE21954
	v_mfma_i32_16x16x32_i8 v[56:59], a[86:87], a[14:15], v[56:59]// 0000000086B0: D3D70038 1CE21D56
	v_mfma_i32_16x16x32_i8 v[68:71], a[88:89], a[8:9], v[68:71]// 0000000086B8: D3D70044 1D121158
	buffer_load_dwordx4 a[68:71], v50, s[24:27], 0 offen offset:1024// 0000000086C0: E05C1400 80864432
	v_mfma_i32_16x16x32_i8 v[68:71], a[90:91], a[10:11], v[68:71]// 0000000086C8: D3D70044 1D12155A
	v_mfma_i32_16x16x32_i8 v[68:71], a[92:93], a[12:13], v[68:71]// 0000000086D0: D3D70044 1D12195C
	v_mfma_i32_16x16x32_i8 v[68:71], a[94:95], a[14:15], v[68:71]// 0000000086D8: D3D70044 1D121D5E
	v_mfma_i32_16x16x32_i8 v[80:83], a[96:97], a[8:9], v[80:83]// 0000000086E0: D3D70050 1D421160
	buffer_load_dwordx4 a[72:75], v51, s[24:27], 0 offen       // 0000000086E8: E05C1000 80864833
	v_mfma_i32_16x16x32_i8 v[80:83], a[98:99], a[10:11], v[80:83]// 0000000086F0: D3D70050 1D421562
	v_mfma_i32_16x16x32_i8 v[80:83], a[100:101], a[12:13], v[80:83]// 0000000086F8: D3D70050 1D421964
	v_mfma_i32_16x16x32_i8 v[80:83], a[102:103], a[14:15], v[80:83]// 000000008700: D3D70050 1D421D66
	v_mfma_i32_16x16x32_i8 v[92:95], a[104:105], a[8:9], v[92:95]// 000000008708: D3D7005C 1D721168
	buffer_load_dwordx4 a[76:79], v51, s[24:27], 0 offen offset:1024// 000000008710: E05C1400 80864C33
	buffer_load_dword v42, s[20:23], 0 offen lds               // 000000008718: E0511000 8005002A
	s_add_u32 m0, 0x100, s49                                   // 000000008720: 807C31FF 00000100
	v_mfma_i32_16x16x32_i8 v[92:95], a[106:107], a[10:11], v[92:95]// 000000008728: D3D7005C 1D72156A
	v_mfma_i32_16x16x32_i8 v[92:95], a[108:109], a[12:13], v[92:95]// 000000008730: D3D7005C 1D72196C
	buffer_load_dword v43, s[20:23], 0 offen lds               // 000000008738: E0511000 8005002B
	s_add_u32 m0, 0x200, s49                                   // 000000008740: 807C31FF 00000200
	v_mfma_i32_16x16x32_i8 v[92:95], a[110:111], a[14:15], v[92:95]// 000000008748: D3D7005C 1D721D6E
	v_mfma_i32_16x16x32_i8 v[60:63], a[80:81], a[16:17], v[60:63]// 000000008750: D3D7003C 1CF22150
	buffer_load_dword v44, s[20:23], 0 offen lds               // 000000008758: E0511000 8005002C
	s_add_u32 m0, 0x300, s49                                   // 000000008760: 807C31FF 00000300
	v_mfma_i32_16x16x32_i8 v[60:63], a[82:83], a[18:19], v[60:63]// 000000008768: D3D7003C 1CF22552
	v_mfma_i32_16x16x32_i8 v[60:63], a[84:85], a[20:21], v[60:63]// 000000008770: D3D7003C 1CF22954
	buffer_load_dword v45, s[20:23], 0 offen lds               // 000000008778: E0511000 8005002D
	s_add_u32 m0, 0x400, s49                                   // 000000008780: 807C31FF 00000400
	v_mfma_i32_16x16x32_i8 v[60:63], a[86:87], a[22:23], v[60:63]// 000000008788: D3D7003C 1CF22D56
	v_mfma_i32_16x16x32_i8 v[72:75], a[88:89], a[16:17], v[72:75]// 000000008790: D3D70048 1D222158
	buffer_load_dword v46, s[20:23], 0 offen lds               // 000000008798: E0511000 8005002E
	s_add_u32 m0, 0x500, s49                                   // 0000000087A0: 807C31FF 00000500
	v_mfma_i32_16x16x32_i8 v[72:75], a[90:91], a[18:19], v[72:75]// 0000000087A8: D3D70048 1D22255A
	v_mfma_i32_16x16x32_i8 v[72:75], a[92:93], a[20:21], v[72:75]// 0000000087B0: D3D70048 1D22295C
	buffer_load_dword v47, s[20:23], 0 offen lds               // 0000000087B8: E0511000 8005002F
	s_add_u32 m0, 0, s50                                       // 0000000087C0: 807C3280
	v_mfma_i32_16x16x32_i8 v[72:75], a[94:95], a[22:23], v[72:75]// 0000000087C4: D3D70048 1D222D5E
	v_mfma_i32_16x16x32_i8 v[84:87], a[96:97], a[16:17], v[84:87]// 0000000087CC: D3D70054 1D522160
	v_mfma_i32_16x16x32_i8 v[84:87], a[98:99], a[18:19], v[84:87]// 0000000087D4: D3D70054 1D522562
	v_mfma_i32_16x16x32_i8 v[84:87], a[100:101], a[20:21], v[84:87]// 0000000087DC: D3D70054 1D522964
	v_mfma_i32_16x16x32_i8 v[84:87], a[102:103], a[22:23], v[84:87]// 0000000087E4: D3D70054 1D522D66
	v_mfma_i32_16x16x32_i8 v[96:99], a[104:105], a[16:17], v[96:99]// 0000000087EC: D3D70060 1D822168
	v_mfma_i32_16x16x32_i8 v[96:99], a[106:107], a[18:19], v[96:99]// 0000000087F4: D3D70060 1D82256A
	v_mfma_i32_16x16x32_i8 v[96:99], a[108:109], a[20:21], v[96:99]// 0000000087FC: D3D70060 1D82296C
	v_mfma_i32_16x16x32_i8 v[96:99], a[110:111], a[22:23], v[96:99]// 000000008804: D3D70060 1D822D6E
	s_waitcnt vmcnt(14)                                        // 00000000880C: BF8C0F7E
	s_barrier                                                  // 000000008810: BF8A0000
	v_mfma_i32_16x16x32_i8 v[100:103], a[112:113], a[0:1], v[100:103]// 000000008814: D3D70064 1D920170
	buffer_load_dwordx4 a[80:83], v48, s[84:87], 0 offen       // 00000000881C: E05C1000 80955030
	v_mfma_i32_16x16x32_i8 v[100:103], a[114:115], a[2:3], v[100:103]// 000000008824: D3D70064 1D920572
	v_mfma_i32_16x16x32_i8 v[100:103], a[116:117], a[4:5], v[100:103]// 00000000882C: D3D70064 1D920974
	ds_read_b128 a[24:27], v2                                  // 000000008834: DBFE0000 18000002
	ds_read_b128 a[28:31], v2 offset:64                        // 00000000883C: DBFE0040 1C000002
	v_mfma_i32_16x16x32_i8 v[100:103], a[118:119], a[6:7], v[100:103]// 000000008844: D3D70064 1D920D76
	v_mfma_i32_16x16x32_i8 v[112:115], a[120:121], a[0:1], v[112:115]// 00000000884C: D3D70070 1DC20178
	buffer_load_dwordx4 a[84:87], v48, s[84:87], 0 offen offset:1024// 000000008854: E05C1400 80955430
	v_mfma_i32_16x16x32_i8 v[112:115], a[122:123], a[2:3], v[112:115]// 00000000885C: D3D70070 1DC2057A
	v_mfma_i32_16x16x32_i8 v[112:115], a[124:125], a[4:5], v[112:115]// 000000008864: D3D70070 1DC2097C
	ds_read_b128 a[32:35], v2 offset:512                       // 00000000886C: DBFE0200 20000002
	ds_read_b128 a[36:39], v2 offset:576                       // 000000008874: DBFE0240 24000002
	v_mfma_i32_16x16x32_i8 v[112:115], a[126:127], a[6:7], v[112:115]// 00000000887C: D3D70070 1DC20D7E
	v_mfma_i32_16x16x32_i8 v[124:127], a[128:129], a[0:1], v[124:127]// 000000008884: D3D7007C 1DF20180
	buffer_load_dwordx4 a[88:91], v49, s[84:87], 0 offen       // 00000000888C: E05C1000 80955831
	v_mfma_i32_16x16x32_i8 v[124:127], a[130:131], a[2:3], v[124:127]// 000000008894: D3D7007C 1DF20582
	v_mfma_i32_16x16x32_i8 v[124:127], a[132:133], a[4:5], v[124:127]// 00000000889C: D3D7007C 1DF20984
	ds_read_b128 a[40:43], v2 offset:1024                      // 0000000088A4: DBFE0400 28000002
	ds_read_b128 a[44:47], v2 offset:1088                      // 0000000088AC: DBFE0440 2C000002
	v_mfma_i32_16x16x32_i8 v[124:127], a[134:135], a[6:7], v[124:127]// 0000000088B4: D3D7007C 1DF20D86
	v_mfma_i32_16x16x32_i8 v[136:139], a[136:137], a[0:1], v[136:139]// 0000000088BC: D3D70088 1E220188
	buffer_load_dwordx4 a[92:95], v49, s[84:87], 0 offen offset:1024// 0000000088C4: E05C1400 80955C31
	v_mfma_i32_16x16x32_i8 v[136:139], a[138:139], a[2:3], v[136:139]// 0000000088CC: D3D70088 1E22058A
	v_mfma_i32_16x16x32_i8 v[136:139], a[140:141], a[4:5], v[136:139]// 0000000088D4: D3D70088 1E22098C
	v_mfma_i32_16x16x32_i8 v[136:139], a[142:143], a[6:7], v[136:139]// 0000000088DC: D3D70088 1E220D8E
	v_mfma_i32_16x16x32_i8 v[104:107], a[112:113], a[8:9], v[104:107]// 0000000088E4: D3D70068 1DA21170
	buffer_load_dwordx4 a[96:99], v50, s[84:87], 0 offen       // 0000000088EC: E05C1000 80956032
	v_mfma_i32_16x16x32_i8 v[104:107], a[114:115], a[10:11], v[104:107]// 0000000088F4: D3D70068 1DA21572
	v_mfma_i32_16x16x32_i8 v[104:107], a[116:117], a[12:13], v[104:107]// 0000000088FC: D3D70068 1DA21974
	v_mfma_i32_16x16x32_i8 v[104:107], a[118:119], a[14:15], v[104:107]// 000000008904: D3D70068 1DA21D76
	v_mfma_i32_16x16x32_i8 v[116:119], a[120:121], a[8:9], v[116:119]// 00000000890C: D3D70074 1DD21178
	buffer_load_dwordx4 a[100:103], v50, s[84:87], 0 offen offset:1024// 000000008914: E05C1400 80956432
	v_mfma_i32_16x16x32_i8 v[116:119], a[122:123], a[10:11], v[116:119]// 00000000891C: D3D70074 1DD2157A
	v_mfma_i32_16x16x32_i8 v[116:119], a[124:125], a[12:13], v[116:119]// 000000008924: D3D70074 1DD2197C
	v_mfma_i32_16x16x32_i8 v[116:119], a[126:127], a[14:15], v[116:119]// 00000000892C: D3D70074 1DD21D7E
	v_mfma_i32_16x16x32_i8 v[128:131], a[128:129], a[8:9], v[128:131]// 000000008934: D3D70080 1E021180
	buffer_load_dwordx4 a[104:107], v51, s[84:87], 0 offen     // 00000000893C: E05C1000 80956833
	v_mfma_i32_16x16x32_i8 v[128:131], a[130:131], a[10:11], v[128:131]// 000000008944: D3D70080 1E021582
	v_mfma_i32_16x16x32_i8 v[128:131], a[132:133], a[12:13], v[128:131]// 00000000894C: D3D70080 1E021984
	v_mfma_i32_16x16x32_i8 v[128:131], a[134:135], a[14:15], v[128:131]// 000000008954: D3D70080 1E021D86
	v_mfma_i32_16x16x32_i8 v[140:143], a[136:137], a[8:9], v[140:143]// 00000000895C: D3D7008C 1E321188
	buffer_load_dwordx4 a[108:111], v51, s[84:87], 0 offen offset:1024// 000000008964: E05C1400 80956C33
	v_mfma_i32_16x16x32_i8 v[140:143], a[138:139], a[10:11], v[140:143]// 00000000896C: D3D7008C 1E32158A
	v_mfma_i32_16x16x32_i8 v[140:143], a[140:141], a[12:13], v[140:143]// 000000008974: D3D7008C 1E32198C
	v_mfma_i32_16x16x32_i8 v[140:143], a[142:143], a[14:15], v[140:143]// 00000000897C: D3D7008C 1E321D8E
	v_mfma_i32_16x16x32_i8 v[108:111], a[112:113], a[16:17], v[108:111]// 000000008984: D3D7006C 1DB22170
	v_mfma_i32_16x16x32_i8 v[108:111], a[114:115], a[18:19], v[108:111]// 00000000898C: D3D7006C 1DB22572
	v_mfma_i32_16x16x32_i8 v[108:111], a[116:117], a[20:21], v[108:111]// 000000008994: D3D7006C 1DB22974
	v_mfma_i32_16x16x32_i8 v[108:111], a[118:119], a[22:23], v[108:111]// 00000000899C: D3D7006C 1DB22D76
	v_mfma_i32_16x16x32_i8 v[120:123], a[120:121], a[16:17], v[120:123]// 0000000089A4: D3D70078 1DE22178
	v_mfma_i32_16x16x32_i8 v[120:123], a[122:123], a[18:19], v[120:123]// 0000000089AC: D3D70078 1DE2257A
	v_mfma_i32_16x16x32_i8 v[120:123], a[124:125], a[20:21], v[120:123]// 0000000089B4: D3D70078 1DE2297C
	v_mfma_i32_16x16x32_i8 v[120:123], a[126:127], a[22:23], v[120:123]// 0000000089BC: D3D70078 1DE22D7E
	v_mfma_i32_16x16x32_i8 v[132:135], a[128:129], a[16:17], v[132:135]// 0000000089C4: D3D70084 1E122180
	s_add_u32 s60, 0x180, s80                                  // 0000000089CC: 803C50FF 00000180
	s_cmp_lt_u32 s60, s81                                      // 0000000089D4: BF0A513C
	s_cselect_b32 s57, s57, 0                                  // 0000000089D8: 85398039
	v_mfma_i32_16x16x32_i8 v[132:135], a[130:131], a[18:19], v[132:135]// 0000000089DC: D3D70084 1E122582
	s_add_u32 s60, 0x100, s80                                  // 0000000089E4: 803C50FF 00000100
	s_cmp_lt_u32 s60, s81                                      // 0000000089EC: BF0A513C
	s_cselect_b32 s58, s58, 0                                  // 0000000089F0: 853A803A
	v_mfma_i32_16x16x32_i8 v[132:135], a[132:133], a[20:21], v[132:135]// 0000000089F4: D3D70084 1E122984
	s_add_u32 s60, 0x100, s80                                  // 0000000089FC: 803C50FF 00000100
	s_cmp_lt_u32 s60, s81                                      // 000000008A04: BF0A513C
	s_cselect_b32 s83, s83, 0                                  // 000000008A08: 85538053
	v_mfma_i32_16x16x32_i8 v[132:135], a[134:135], a[22:23], v[132:135]// 000000008A0C: D3D70084 1E122D86
	s_add_u32 s24, s58, s24                                    // 000000008A14: 8018183A
	s_addc_u32 s25, 0, s25                                     // 000000008A18: 82191980
	v_mfma_i32_16x16x32_i8 v[144:147], a[136:137], a[16:17], v[144:147]// 000000008A1C: D3D70090 1E422188
	s_add_u32 s20, s57, s20                                    // 000000008A24: 80141439
	s_addc_u32 s21, 0, s21                                     // 000000008A28: 82151580
	v_mfma_i32_16x16x32_i8 v[144:147], a[138:139], a[18:19], v[144:147]// 000000008A2C: D3D70090 1E42258A
	s_add_u32 s84, s83, s84                                    // 000000008A34: 80545453
	s_addc_u32 s85, 0, s85                                     // 000000008A38: 82555580
	v_mfma_i32_16x16x32_i8 v[144:147], a[140:141], a[20:21], v[144:147]// 000000008A3C: D3D70090 1E42298C
	v_mfma_i32_16x16x32_i8 v[144:147], a[142:143], a[22:23], v[144:147]// 000000008A44: D3D70090 1E422D8E
	s_addk_i32 s80, 0x80                                       // 000000008A4C: B7500080
	s_cmp_lt_i32 s80, s81                                      // 000000008A50: BF045150
	s_cbranch_scc0 label_1B6B                                  // 000000008A54: BF840352
	s_waitcnt vmcnt(14) lgkmcnt(0)                             // 000000008A58: BF8C007E
	v_mfma_i32_16x16x32_i8 v[52:55], a[48:49], a[24:25], v[52:55]// 000000008A5C: D3D70034 1CD23130
	buffer_load_dwordx4 a[112:115], v48, s[24:27], 0 offen     // 000000008A64: E05C1000 80867030
	v_mfma_i32_16x16x32_i8 v[52:55], a[50:51], a[26:27], v[52:55]// 000000008A6C: D3D70034 1CD23532
	v_mfma_i32_16x16x32_i8 v[52:55], a[52:53], a[28:29], v[52:55]// 000000008A74: D3D70034 1CD23934
	v_mfma_i32_16x16x32_i8 v[52:55], a[54:55], a[30:31], v[52:55]// 000000008A7C: D3D70034 1CD23D36
	v_mfma_i32_16x16x32_i8 v[64:67], a[56:57], a[24:25], v[64:67]// 000000008A84: D3D70040 1D023138
	buffer_load_dwordx4 a[116:119], v48, s[24:27], 0 offen offset:1024// 000000008A8C: E05C1400 80867430
	v_mfma_i32_16x16x32_i8 v[64:67], a[58:59], a[26:27], v[64:67]// 000000008A94: D3D70040 1D02353A
	v_mfma_i32_16x16x32_i8 v[64:67], a[60:61], a[28:29], v[64:67]// 000000008A9C: D3D70040 1D02393C
	v_mfma_i32_16x16x32_i8 v[64:67], a[62:63], a[30:31], v[64:67]// 000000008AA4: D3D70040 1D023D3E
	v_mfma_i32_16x16x32_i8 v[76:79], a[64:65], a[24:25], v[76:79]// 000000008AAC: D3D7004C 1D323140
	buffer_load_dwordx4 a[120:123], v49, s[24:27], 0 offen     // 000000008AB4: E05C1000 80867831
	v_mfma_i32_16x16x32_i8 v[76:79], a[66:67], a[26:27], v[76:79]// 000000008ABC: D3D7004C 1D323542
	v_mfma_i32_16x16x32_i8 v[76:79], a[68:69], a[28:29], v[76:79]// 000000008AC4: D3D7004C 1D323944
	v_mfma_i32_16x16x32_i8 v[76:79], a[70:71], a[30:31], v[76:79]// 000000008ACC: D3D7004C 1D323D46
	v_mfma_i32_16x16x32_i8 v[88:91], a[72:73], a[24:25], v[88:91]// 000000008AD4: D3D70058 1D623148
	buffer_load_dwordx4 a[124:127], v49, s[24:27], 0 offen offset:1024// 000000008ADC: E05C1400 80867C31
	v_mfma_i32_16x16x32_i8 v[88:91], a[74:75], a[26:27], v[88:91]// 000000008AE4: D3D70058 1D62354A
	v_mfma_i32_16x16x32_i8 v[88:91], a[76:77], a[28:29], v[88:91]// 000000008AEC: D3D70058 1D62394C
	v_mfma_i32_16x16x32_i8 v[88:91], a[78:79], a[30:31], v[88:91]// 000000008AF4: D3D70058 1D623D4E
	v_mfma_i32_16x16x32_i8 v[56:59], a[48:49], a[32:33], v[56:59]// 000000008AFC: D3D70038 1CE24130
	buffer_load_dwordx4 a[128:131], v50, s[24:27], 0 offen     // 000000008B04: E05C1000 80868032
	v_mfma_i32_16x16x32_i8 v[56:59], a[50:51], a[34:35], v[56:59]// 000000008B0C: D3D70038 1CE24532
	v_mfma_i32_16x16x32_i8 v[56:59], a[52:53], a[36:37], v[56:59]// 000000008B14: D3D70038 1CE24934
	v_mfma_i32_16x16x32_i8 v[56:59], a[54:55], a[38:39], v[56:59]// 000000008B1C: D3D70038 1CE24D36
	v_mfma_i32_16x16x32_i8 v[68:71], a[56:57], a[32:33], v[68:71]// 000000008B24: D3D70044 1D124138
	buffer_load_dwordx4 a[132:135], v50, s[24:27], 0 offen offset:1024// 000000008B2C: E05C1400 80868432
	v_mfma_i32_16x16x32_i8 v[68:71], a[58:59], a[34:35], v[68:71]// 000000008B34: D3D70044 1D12453A
	v_mfma_i32_16x16x32_i8 v[68:71], a[60:61], a[36:37], v[68:71]// 000000008B3C: D3D70044 1D12493C
	v_mfma_i32_16x16x32_i8 v[68:71], a[62:63], a[38:39], v[68:71]// 000000008B44: D3D70044 1D124D3E
	v_mfma_i32_16x16x32_i8 v[80:83], a[64:65], a[32:33], v[80:83]// 000000008B4C: D3D70050 1D424140
	buffer_load_dwordx4 a[136:139], v51, s[24:27], 0 offen     // 000000008B54: E05C1000 80868833
	v_mfma_i32_16x16x32_i8 v[80:83], a[66:67], a[34:35], v[80:83]// 000000008B5C: D3D70050 1D424542
	v_mfma_i32_16x16x32_i8 v[80:83], a[68:69], a[36:37], v[80:83]// 000000008B64: D3D70050 1D424944
	v_mfma_i32_16x16x32_i8 v[80:83], a[70:71], a[38:39], v[80:83]// 000000008B6C: D3D70050 1D424D46
	v_mfma_i32_16x16x32_i8 v[92:95], a[72:73], a[32:33], v[92:95]// 000000008B74: D3D7005C 1D724148
	buffer_load_dwordx4 a[140:143], v51, s[24:27], 0 offen offset:1024// 000000008B7C: E05C1400 80868C33
	buffer_load_dword v42, s[20:23], 0 offen lds               // 000000008B84: E0511000 8005002A
	s_add_u32 m0, 0x100, s50                                   // 000000008B8C: 807C32FF 00000100
	v_mfma_i32_16x16x32_i8 v[92:95], a[74:75], a[34:35], v[92:95]// 000000008B94: D3D7005C 1D72454A
	v_mfma_i32_16x16x32_i8 v[92:95], a[76:77], a[36:37], v[92:95]// 000000008B9C: D3D7005C 1D72494C
	buffer_load_dword v43, s[20:23], 0 offen lds               // 000000008BA4: E0511000 8005002B
	s_add_u32 m0, 0x200, s50                                   // 000000008BAC: 807C32FF 00000200
	v_mfma_i32_16x16x32_i8 v[92:95], a[78:79], a[38:39], v[92:95]// 000000008BB4: D3D7005C 1D724D4E
	v_mfma_i32_16x16x32_i8 v[60:63], a[48:49], a[40:41], v[60:63]// 000000008BBC: D3D7003C 1CF25130
	buffer_load_dword v44, s[20:23], 0 offen lds               // 000000008BC4: E0511000 8005002C
	s_add_u32 m0, 0x300, s50                                   // 000000008BCC: 807C32FF 00000300
	v_mfma_i32_16x16x32_i8 v[60:63], a[50:51], a[42:43], v[60:63]// 000000008BD4: D3D7003C 1CF25532
	v_mfma_i32_16x16x32_i8 v[60:63], a[52:53], a[44:45], v[60:63]// 000000008BDC: D3D7003C 1CF25934
	buffer_load_dword v45, s[20:23], 0 offen lds               // 000000008BE4: E0511000 8005002D
	s_add_u32 m0, 0x400, s50                                   // 000000008BEC: 807C32FF 00000400
	v_mfma_i32_16x16x32_i8 v[60:63], a[54:55], a[46:47], v[60:63]// 000000008BF4: D3D7003C 1CF25D36
	v_mfma_i32_16x16x32_i8 v[72:75], a[56:57], a[40:41], v[72:75]// 000000008BFC: D3D70048 1D225138
	buffer_load_dword v46, s[20:23], 0 offen lds               // 000000008C04: E0511000 8005002E
	s_add_u32 m0, 0x500, s50                                   // 000000008C0C: 807C32FF 00000500
	v_mfma_i32_16x16x32_i8 v[72:75], a[58:59], a[42:43], v[72:75]// 000000008C14: D3D70048 1D22553A
	v_mfma_i32_16x16x32_i8 v[72:75], a[60:61], a[44:45], v[72:75]// 000000008C1C: D3D70048 1D22593C
	buffer_load_dword v47, s[20:23], 0 offen lds               // 000000008C24: E0511000 8005002F
	s_add_u32 m0, 0, s48                                       // 000000008C2C: 807C3080
	v_mfma_i32_16x16x32_i8 v[72:75], a[62:63], a[46:47], v[72:75]// 000000008C30: D3D70048 1D225D3E
	v_mfma_i32_16x16x32_i8 v[84:87], a[64:65], a[40:41], v[84:87]// 000000008C38: D3D70054 1D525140
	v_mfma_i32_16x16x32_i8 v[84:87], a[66:67], a[42:43], v[84:87]// 000000008C40: D3D70054 1D525542
	v_mfma_i32_16x16x32_i8 v[84:87], a[68:69], a[44:45], v[84:87]// 000000008C48: D3D70054 1D525944
	v_mfma_i32_16x16x32_i8 v[84:87], a[70:71], a[46:47], v[84:87]// 000000008C50: D3D70054 1D525D46
	v_mfma_i32_16x16x32_i8 v[96:99], a[72:73], a[40:41], v[96:99]// 000000008C58: D3D70060 1D825148
	v_mfma_i32_16x16x32_i8 v[96:99], a[74:75], a[42:43], v[96:99]// 000000008C60: D3D70060 1D82554A
	v_mfma_i32_16x16x32_i8 v[96:99], a[76:77], a[44:45], v[96:99]// 000000008C68: D3D70060 1D82594C
	v_mfma_i32_16x16x32_i8 v[96:99], a[78:79], a[46:47], v[96:99]// 000000008C70: D3D70060 1D825D4E
	s_waitcnt vmcnt(14)                                        // 000000008C78: BF8C0F7E
	s_barrier                                                  // 000000008C7C: BF8A0000
	v_mfma_i32_16x16x32_i8 v[100:103], a[80:81], a[24:25], v[100:103]// 000000008C80: D3D70064 1D923150
	buffer_load_dwordx4 a[48:51], v48, s[84:87], 0 offen       // 000000008C88: E05C1000 80953030
	v_mfma_i32_16x16x32_i8 v[100:103], a[82:83], a[26:27], v[100:103]// 000000008C90: D3D70064 1D923552
	v_mfma_i32_16x16x32_i8 v[100:103], a[84:85], a[28:29], v[100:103]// 000000008C98: D3D70064 1D923954
	ds_read_b128 a[0:3], v2 offset:6272                        // 000000008CA0: DBFE1880 00000002
	ds_read_b128 a[4:7], v2 offset:6336                        // 000000008CA8: DBFE18C0 04000002
	v_mfma_i32_16x16x32_i8 v[100:103], a[86:87], a[30:31], v[100:103]// 000000008CB0: D3D70064 1D923D56
	v_mfma_i32_16x16x32_i8 v[112:115], a[88:89], a[24:25], v[112:115]// 000000008CB8: D3D70070 1DC23158
	buffer_load_dwordx4 a[52:55], v48, s[84:87], 0 offen offset:1024// 000000008CC0: E05C1400 80953430
	v_mfma_i32_16x16x32_i8 v[112:115], a[90:91], a[26:27], v[112:115]// 000000008CC8: D3D70070 1DC2355A
	v_mfma_i32_16x16x32_i8 v[112:115], a[92:93], a[28:29], v[112:115]// 000000008CD0: D3D70070 1DC2395C
	ds_read_b128 a[8:11], v2 offset:6784                       // 000000008CD8: DBFE1A80 08000002
	ds_read_b128 a[12:15], v2 offset:6848                      // 000000008CE0: DBFE1AC0 0C000002
	v_mfma_i32_16x16x32_i8 v[112:115], a[94:95], a[30:31], v[112:115]// 000000008CE8: D3D70070 1DC23D5E
	v_mfma_i32_16x16x32_i8 v[124:127], a[96:97], a[24:25], v[124:127]// 000000008CF0: D3D7007C 1DF23160
	buffer_load_dwordx4 a[56:59], v49, s[84:87], 0 offen       // 000000008CF8: E05C1000 80953831
	v_mfma_i32_16x16x32_i8 v[124:127], a[98:99], a[26:27], v[124:127]// 000000008D00: D3D7007C 1DF23562
	v_mfma_i32_16x16x32_i8 v[124:127], a[100:101], a[28:29], v[124:127]// 000000008D08: D3D7007C 1DF23964
	ds_read_b128 a[16:19], v2 offset:7296                      // 000000008D10: DBFE1C80 10000002
	ds_read_b128 a[20:23], v2 offset:7360                      // 000000008D18: DBFE1CC0 14000002
	v_mfma_i32_16x16x32_i8 v[124:127], a[102:103], a[30:31], v[124:127]// 000000008D20: D3D7007C 1DF23D66
	v_mfma_i32_16x16x32_i8 v[136:139], a[104:105], a[24:25], v[136:139]// 000000008D28: D3D70088 1E223168
	buffer_load_dwordx4 a[60:63], v49, s[84:87], 0 offen offset:1024// 000000008D30: E05C1400 80953C31
	v_mfma_i32_16x16x32_i8 v[136:139], a[106:107], a[26:27], v[136:139]// 000000008D38: D3D70088 1E22356A
	v_mfma_i32_16x16x32_i8 v[136:139], a[108:109], a[28:29], v[136:139]// 000000008D40: D3D70088 1E22396C
	v_mfma_i32_16x16x32_i8 v[136:139], a[110:111], a[30:31], v[136:139]// 000000008D48: D3D70088 1E223D6E
	v_mfma_i32_16x16x32_i8 v[104:107], a[80:81], a[32:33], v[104:107]// 000000008D50: D3D70068 1DA24150
	buffer_load_dwordx4 a[64:67], v50, s[84:87], 0 offen       // 000000008D58: E05C1000 80954032
	v_mfma_i32_16x16x32_i8 v[104:107], a[82:83], a[34:35], v[104:107]// 000000008D60: D3D70068 1DA24552
	v_mfma_i32_16x16x32_i8 v[104:107], a[84:85], a[36:37], v[104:107]// 000000008D68: D3D70068 1DA24954
	v_mfma_i32_16x16x32_i8 v[104:107], a[86:87], a[38:39], v[104:107]// 000000008D70: D3D70068 1DA24D56
	v_mfma_i32_16x16x32_i8 v[116:119], a[88:89], a[32:33], v[116:119]// 000000008D78: D3D70074 1DD24158
	buffer_load_dwordx4 a[68:71], v50, s[84:87], 0 offen offset:1024// 000000008D80: E05C1400 80954432
	v_mfma_i32_16x16x32_i8 v[116:119], a[90:91], a[34:35], v[116:119]// 000000008D88: D3D70074 1DD2455A
	v_mfma_i32_16x16x32_i8 v[116:119], a[92:93], a[36:37], v[116:119]// 000000008D90: D3D70074 1DD2495C
	v_mfma_i32_16x16x32_i8 v[116:119], a[94:95], a[38:39], v[116:119]// 000000008D98: D3D70074 1DD24D5E
	v_mfma_i32_16x16x32_i8 v[128:131], a[96:97], a[32:33], v[128:131]// 000000008DA0: D3D70080 1E024160
	buffer_load_dwordx4 a[72:75], v51, s[84:87], 0 offen       // 000000008DA8: E05C1000 80954833
	v_mfma_i32_16x16x32_i8 v[128:131], a[98:99], a[34:35], v[128:131]// 000000008DB0: D3D70080 1E024562
	v_mfma_i32_16x16x32_i8 v[128:131], a[100:101], a[36:37], v[128:131]// 000000008DB8: D3D70080 1E024964
	v_mfma_i32_16x16x32_i8 v[128:131], a[102:103], a[38:39], v[128:131]// 000000008DC0: D3D70080 1E024D66
	v_mfma_i32_16x16x32_i8 v[140:143], a[104:105], a[32:33], v[140:143]// 000000008DC8: D3D7008C 1E324168
	buffer_load_dwordx4 a[76:79], v51, s[84:87], 0 offen offset:1024// 000000008DD0: E05C1400 80954C33
	v_mfma_i32_16x16x32_i8 v[140:143], a[106:107], a[34:35], v[140:143]// 000000008DD8: D3D7008C 1E32456A
	v_mfma_i32_16x16x32_i8 v[140:143], a[108:109], a[36:37], v[140:143]// 000000008DE0: D3D7008C 1E32496C
	v_mfma_i32_16x16x32_i8 v[140:143], a[110:111], a[38:39], v[140:143]// 000000008DE8: D3D7008C 1E324D6E
	v_mfma_i32_16x16x32_i8 v[108:111], a[80:81], a[40:41], v[108:111]// 000000008DF0: D3D7006C 1DB25150
	v_mfma_i32_16x16x32_i8 v[108:111], a[82:83], a[42:43], v[108:111]// 000000008DF8: D3D7006C 1DB25552
	v_mfma_i32_16x16x32_i8 v[108:111], a[84:85], a[44:45], v[108:111]// 000000008E00: D3D7006C 1DB25954
	v_mfma_i32_16x16x32_i8 v[108:111], a[86:87], a[46:47], v[108:111]// 000000008E08: D3D7006C 1DB25D56
	v_mfma_i32_16x16x32_i8 v[120:123], a[88:89], a[40:41], v[120:123]// 000000008E10: D3D70078 1DE25158
	v_mfma_i32_16x16x32_i8 v[120:123], a[90:91], a[42:43], v[120:123]// 000000008E18: D3D70078 1DE2555A
	v_mfma_i32_16x16x32_i8 v[120:123], a[92:93], a[44:45], v[120:123]// 000000008E20: D3D70078 1DE2595C
	v_mfma_i32_16x16x32_i8 v[120:123], a[94:95], a[46:47], v[120:123]// 000000008E28: D3D70078 1DE25D5E
	v_mfma_i32_16x16x32_i8 v[132:135], a[96:97], a[40:41], v[132:135]// 000000008E30: D3D70084 1E125160
	s_add_u32 s60, 0x180, s80                                  // 000000008E38: 803C50FF 00000180
	s_cmp_lt_u32 s60, s81                                      // 000000008E40: BF0A513C
	s_cselect_b32 s57, s57, 0                                  // 000000008E44: 85398039
	v_mfma_i32_16x16x32_i8 v[132:135], a[98:99], a[42:43], v[132:135]// 000000008E48: D3D70084 1E125562
	s_add_u32 s60, 0x100, s80                                  // 000000008E50: 803C50FF 00000100
	s_cmp_lt_u32 s60, s81                                      // 000000008E58: BF0A513C
	s_cselect_b32 s58, s58, 0                                  // 000000008E5C: 853A803A
	v_mfma_i32_16x16x32_i8 v[132:135], a[100:101], a[44:45], v[132:135]// 000000008E60: D3D70084 1E125964
	s_add_u32 s60, 0x100, s80                                  // 000000008E68: 803C50FF 00000100
	s_cmp_lt_u32 s60, s81                                      // 000000008E70: BF0A513C
	s_cselect_b32 s83, s83, 0                                  // 000000008E74: 85538053
	v_mfma_i32_16x16x32_i8 v[132:135], a[102:103], a[46:47], v[132:135]// 000000008E78: D3D70084 1E125D66
	s_add_u32 s24, s58, s24                                    // 000000008E80: 8018183A
	s_addc_u32 s25, 0, s25                                     // 000000008E84: 82191980
	v_mfma_i32_16x16x32_i8 v[144:147], a[104:105], a[40:41], v[144:147]// 000000008E88: D3D70090 1E425168
	s_add_u32 s20, s57, s20                                    // 000000008E90: 80141439
	s_addc_u32 s21, 0, s21                                     // 000000008E94: 82151580
	v_mfma_i32_16x16x32_i8 v[144:147], a[106:107], a[42:43], v[144:147]// 000000008E98: D3D70090 1E42556A
	s_add_u32 s84, s83, s84                                    // 000000008EA0: 80545453
	s_addc_u32 s85, 0, s85                                     // 000000008EA4: 82555580
	v_mfma_i32_16x16x32_i8 v[144:147], a[108:109], a[44:45], v[144:147]// 000000008EA8: D3D70090 1E42596C
	v_mfma_i32_16x16x32_i8 v[144:147], a[110:111], a[46:47], v[144:147]// 000000008EB0: D3D70090 1E425D6E
	s_addk_i32 s80, 0x80                                       // 000000008EB8: B7500080
	s_cmp_lt_i32 s80, s81                                      // 000000008EBC: BF045150
	s_cbranch_scc0 label_1B6B                                  // 000000008EC0: BF840237
	s_waitcnt vmcnt(14) lgkmcnt(0)                             // 000000008EC4: BF8C007E
	v_mfma_i32_16x16x32_i8 v[52:55], a[112:113], a[0:1], v[52:55]// 000000008EC8: D3D70034 1CD20170
	buffer_load_dwordx4 a[80:83], v48, s[24:27], 0 offen       // 000000008ED0: E05C1000 80865030
	v_mfma_i32_16x16x32_i8 v[52:55], a[114:115], a[2:3], v[52:55]// 000000008ED8: D3D70034 1CD20572
	v_mfma_i32_16x16x32_i8 v[52:55], a[116:117], a[4:5], v[52:55]// 000000008EE0: D3D70034 1CD20974
	v_mfma_i32_16x16x32_i8 v[52:55], a[118:119], a[6:7], v[52:55]// 000000008EE8: D3D70034 1CD20D76
	v_mfma_i32_16x16x32_i8 v[64:67], a[120:121], a[0:1], v[64:67]// 000000008EF0: D3D70040 1D020178
	buffer_load_dwordx4 a[84:87], v48, s[24:27], 0 offen offset:1024// 000000008EF8: E05C1400 80865430
	v_mfma_i32_16x16x32_i8 v[64:67], a[122:123], a[2:3], v[64:67]// 000000008F00: D3D70040 1D02057A
	v_mfma_i32_16x16x32_i8 v[64:67], a[124:125], a[4:5], v[64:67]// 000000008F08: D3D70040 1D02097C
	v_mfma_i32_16x16x32_i8 v[64:67], a[126:127], a[6:7], v[64:67]// 000000008F10: D3D70040 1D020D7E
	v_mfma_i32_16x16x32_i8 v[76:79], a[128:129], a[0:1], v[76:79]// 000000008F18: D3D7004C 1D320180
	buffer_load_dwordx4 a[88:91], v49, s[24:27], 0 offen       // 000000008F20: E05C1000 80865831
	v_mfma_i32_16x16x32_i8 v[76:79], a[130:131], a[2:3], v[76:79]// 000000008F28: D3D7004C 1D320582
	v_mfma_i32_16x16x32_i8 v[76:79], a[132:133], a[4:5], v[76:79]// 000000008F30: D3D7004C 1D320984
	v_mfma_i32_16x16x32_i8 v[76:79], a[134:135], a[6:7], v[76:79]// 000000008F38: D3D7004C 1D320D86
	v_mfma_i32_16x16x32_i8 v[88:91], a[136:137], a[0:1], v[88:91]// 000000008F40: D3D70058 1D620188
	buffer_load_dwordx4 a[92:95], v49, s[24:27], 0 offen offset:1024// 000000008F48: E05C1400 80865C31
	v_mfma_i32_16x16x32_i8 v[88:91], a[138:139], a[2:3], v[88:91]// 000000008F50: D3D70058 1D62058A
	v_mfma_i32_16x16x32_i8 v[88:91], a[140:141], a[4:5], v[88:91]// 000000008F58: D3D70058 1D62098C
	v_mfma_i32_16x16x32_i8 v[88:91], a[142:143], a[6:7], v[88:91]// 000000008F60: D3D70058 1D620D8E
	v_mfma_i32_16x16x32_i8 v[56:59], a[112:113], a[8:9], v[56:59]// 000000008F68: D3D70038 1CE21170
	buffer_load_dwordx4 a[96:99], v50, s[24:27], 0 offen       // 000000008F70: E05C1000 80866032
	v_mfma_i32_16x16x32_i8 v[56:59], a[114:115], a[10:11], v[56:59]// 000000008F78: D3D70038 1CE21572
	v_mfma_i32_16x16x32_i8 v[56:59], a[116:117], a[12:13], v[56:59]// 000000008F80: D3D70038 1CE21974
	v_mfma_i32_16x16x32_i8 v[56:59], a[118:119], a[14:15], v[56:59]// 000000008F88: D3D70038 1CE21D76
	v_mfma_i32_16x16x32_i8 v[68:71], a[120:121], a[8:9], v[68:71]// 000000008F90: D3D70044 1D121178
	buffer_load_dwordx4 a[100:103], v50, s[24:27], 0 offen offset:1024// 000000008F98: E05C1400 80866432
	v_mfma_i32_16x16x32_i8 v[68:71], a[122:123], a[10:11], v[68:71]// 000000008FA0: D3D70044 1D12157A
	v_mfma_i32_16x16x32_i8 v[68:71], a[124:125], a[12:13], v[68:71]// 000000008FA8: D3D70044 1D12197C
	v_mfma_i32_16x16x32_i8 v[68:71], a[126:127], a[14:15], v[68:71]// 000000008FB0: D3D70044 1D121D7E
	v_mfma_i32_16x16x32_i8 v[80:83], a[128:129], a[8:9], v[80:83]// 000000008FB8: D3D70050 1D421180
	buffer_load_dwordx4 a[104:107], v51, s[24:27], 0 offen     // 000000008FC0: E05C1000 80866833
	v_mfma_i32_16x16x32_i8 v[80:83], a[130:131], a[10:11], v[80:83]// 000000008FC8: D3D70050 1D421582
	v_mfma_i32_16x16x32_i8 v[80:83], a[132:133], a[12:13], v[80:83]// 000000008FD0: D3D70050 1D421984
	v_mfma_i32_16x16x32_i8 v[80:83], a[134:135], a[14:15], v[80:83]// 000000008FD8: D3D70050 1D421D86
	v_mfma_i32_16x16x32_i8 v[92:95], a[136:137], a[8:9], v[92:95]// 000000008FE0: D3D7005C 1D721188
	buffer_load_dwordx4 a[108:111], v51, s[24:27], 0 offen offset:1024// 000000008FE8: E05C1400 80866C33
	buffer_load_dword v42, s[20:23], 0 offen lds               // 000000008FF0: E0511000 8005002A
	s_add_u32 m0, 0x100, s48                                   // 000000008FF8: 807C30FF 00000100
	v_mfma_i32_16x16x32_i8 v[92:95], a[138:139], a[10:11], v[92:95]// 000000009000: D3D7005C 1D72158A
	v_mfma_i32_16x16x32_i8 v[92:95], a[140:141], a[12:13], v[92:95]// 000000009008: D3D7005C 1D72198C
	buffer_load_dword v43, s[20:23], 0 offen lds               // 000000009010: E0511000 8005002B
	s_add_u32 m0, 0x200, s48                                   // 000000009018: 807C30FF 00000200
	v_mfma_i32_16x16x32_i8 v[92:95], a[142:143], a[14:15], v[92:95]// 000000009020: D3D7005C 1D721D8E
	v_mfma_i32_16x16x32_i8 v[60:63], a[112:113], a[16:17], v[60:63]// 000000009028: D3D7003C 1CF22170
	buffer_load_dword v44, s[20:23], 0 offen lds               // 000000009030: E0511000 8005002C
	s_add_u32 m0, 0x300, s48                                   // 000000009038: 807C30FF 00000300
	v_mfma_i32_16x16x32_i8 v[60:63], a[114:115], a[18:19], v[60:63]// 000000009040: D3D7003C 1CF22572
	v_mfma_i32_16x16x32_i8 v[60:63], a[116:117], a[20:21], v[60:63]// 000000009048: D3D7003C 1CF22974
	buffer_load_dword v45, s[20:23], 0 offen lds               // 000000009050: E0511000 8005002D
	s_add_u32 m0, 0x400, s48                                   // 000000009058: 807C30FF 00000400
	v_mfma_i32_16x16x32_i8 v[60:63], a[118:119], a[22:23], v[60:63]// 000000009060: D3D7003C 1CF22D76
	v_mfma_i32_16x16x32_i8 v[72:75], a[120:121], a[16:17], v[72:75]// 000000009068: D3D70048 1D222178
	buffer_load_dword v46, s[20:23], 0 offen lds               // 000000009070: E0511000 8005002E
	s_add_u32 m0, 0x500, s48                                   // 000000009078: 807C30FF 00000500
	v_mfma_i32_16x16x32_i8 v[72:75], a[122:123], a[18:19], v[72:75]// 000000009080: D3D70048 1D22257A
	v_mfma_i32_16x16x32_i8 v[72:75], a[124:125], a[20:21], v[72:75]// 000000009088: D3D70048 1D22297C
	buffer_load_dword v47, s[20:23], 0 offen lds               // 000000009090: E0511000 8005002F
	s_add_u32 m0, 0, s49                                       // 000000009098: 807C3180
	v_mfma_i32_16x16x32_i8 v[72:75], a[126:127], a[22:23], v[72:75]// 00000000909C: D3D70048 1D222D7E
	v_mfma_i32_16x16x32_i8 v[84:87], a[128:129], a[16:17], v[84:87]// 0000000090A4: D3D70054 1D522180
	v_mfma_i32_16x16x32_i8 v[84:87], a[130:131], a[18:19], v[84:87]// 0000000090AC: D3D70054 1D522582
	v_mfma_i32_16x16x32_i8 v[84:87], a[132:133], a[20:21], v[84:87]// 0000000090B4: D3D70054 1D522984
	v_mfma_i32_16x16x32_i8 v[84:87], a[134:135], a[22:23], v[84:87]// 0000000090BC: D3D70054 1D522D86
	v_mfma_i32_16x16x32_i8 v[96:99], a[136:137], a[16:17], v[96:99]// 0000000090C4: D3D70060 1D822188
	v_mfma_i32_16x16x32_i8 v[96:99], a[138:139], a[18:19], v[96:99]// 0000000090CC: D3D70060 1D82258A
	v_mfma_i32_16x16x32_i8 v[96:99], a[140:141], a[20:21], v[96:99]// 0000000090D4: D3D70060 1D82298C
	v_mfma_i32_16x16x32_i8 v[96:99], a[142:143], a[22:23], v[96:99]// 0000000090DC: D3D70060 1D822D8E
	s_waitcnt vmcnt(14)                                        // 0000000090E4: BF8C0F7E
	s_barrier                                                  // 0000000090E8: BF8A0000
	v_mfma_i32_16x16x32_i8 v[100:103], a[48:49], a[0:1], v[100:103]// 0000000090EC: D3D70064 1D920130
	buffer_load_dwordx4 a[112:115], v48, s[84:87], 0 offen     // 0000000090F4: E05C1000 80957030
	v_mfma_i32_16x16x32_i8 v[100:103], a[50:51], a[2:3], v[100:103]// 0000000090FC: D3D70064 1D920532
	v_mfma_i32_16x16x32_i8 v[100:103], a[52:53], a[4:5], v[100:103]// 000000009104: D3D70064 1D920934
	ds_read_b128 a[24:27], v2 offset:12544                     // 00000000910C: DBFE3100 18000002
	ds_read_b128 a[28:31], v2 offset:12608                     // 000000009114: DBFE3140 1C000002
	v_mfma_i32_16x16x32_i8 v[100:103], a[54:55], a[6:7], v[100:103]// 00000000911C: D3D70064 1D920D36
	v_mfma_i32_16x16x32_i8 v[112:115], a[56:57], a[0:1], v[112:115]// 000000009124: D3D70070 1DC20138
	buffer_load_dwordx4 a[116:119], v48, s[84:87], 0 offen offset:1024// 00000000912C: E05C1400 80957430
	v_mfma_i32_16x16x32_i8 v[112:115], a[58:59], a[2:3], v[112:115]// 000000009134: D3D70070 1DC2053A
	v_mfma_i32_16x16x32_i8 v[112:115], a[60:61], a[4:5], v[112:115]// 00000000913C: D3D70070 1DC2093C
	ds_read_b128 a[32:35], v2 offset:13056                     // 000000009144: DBFE3300 20000002
	ds_read_b128 a[36:39], v2 offset:13120                     // 00000000914C: DBFE3340 24000002
	v_mfma_i32_16x16x32_i8 v[112:115], a[62:63], a[6:7], v[112:115]// 000000009154: D3D70070 1DC20D3E
	v_mfma_i32_16x16x32_i8 v[124:127], a[64:65], a[0:1], v[124:127]// 00000000915C: D3D7007C 1DF20140
	buffer_load_dwordx4 a[120:123], v49, s[84:87], 0 offen     // 000000009164: E05C1000 80957831
	v_mfma_i32_16x16x32_i8 v[124:127], a[66:67], a[2:3], v[124:127]// 00000000916C: D3D7007C 1DF20542
	v_mfma_i32_16x16x32_i8 v[124:127], a[68:69], a[4:5], v[124:127]// 000000009174: D3D7007C 1DF20944
	ds_read_b128 a[40:43], v2 offset:13568                     // 00000000917C: DBFE3500 28000002
	ds_read_b128 a[44:47], v2 offset:13632                     // 000000009184: DBFE3540 2C000002
	v_mfma_i32_16x16x32_i8 v[124:127], a[70:71], a[6:7], v[124:127]// 00000000918C: D3D7007C 1DF20D46
	v_mfma_i32_16x16x32_i8 v[136:139], a[72:73], a[0:1], v[136:139]// 000000009194: D3D70088 1E220148
	buffer_load_dwordx4 a[124:127], v49, s[84:87], 0 offen offset:1024// 00000000919C: E05C1400 80957C31
	v_mfma_i32_16x16x32_i8 v[136:139], a[74:75], a[2:3], v[136:139]// 0000000091A4: D3D70088 1E22054A
	v_mfma_i32_16x16x32_i8 v[136:139], a[76:77], a[4:5], v[136:139]// 0000000091AC: D3D70088 1E22094C
	v_mfma_i32_16x16x32_i8 v[136:139], a[78:79], a[6:7], v[136:139]// 0000000091B4: D3D70088 1E220D4E
	v_mfma_i32_16x16x32_i8 v[104:107], a[48:49], a[8:9], v[104:107]// 0000000091BC: D3D70068 1DA21130
	buffer_load_dwordx4 a[128:131], v50, s[84:87], 0 offen     // 0000000091C4: E05C1000 80958032
	v_mfma_i32_16x16x32_i8 v[104:107], a[50:51], a[10:11], v[104:107]// 0000000091CC: D3D70068 1DA21532
	v_mfma_i32_16x16x32_i8 v[104:107], a[52:53], a[12:13], v[104:107]// 0000000091D4: D3D70068 1DA21934
	v_mfma_i32_16x16x32_i8 v[104:107], a[54:55], a[14:15], v[104:107]// 0000000091DC: D3D70068 1DA21D36
	v_mfma_i32_16x16x32_i8 v[116:119], a[56:57], a[8:9], v[116:119]// 0000000091E4: D3D70074 1DD21138
	buffer_load_dwordx4 a[132:135], v50, s[84:87], 0 offen offset:1024// 0000000091EC: E05C1400 80958432
	v_mfma_i32_16x16x32_i8 v[116:119], a[58:59], a[10:11], v[116:119]// 0000000091F4: D3D70074 1DD2153A
	v_mfma_i32_16x16x32_i8 v[116:119], a[60:61], a[12:13], v[116:119]// 0000000091FC: D3D70074 1DD2193C
	v_mfma_i32_16x16x32_i8 v[116:119], a[62:63], a[14:15], v[116:119]// 000000009204: D3D70074 1DD21D3E
	v_mfma_i32_16x16x32_i8 v[128:131], a[64:65], a[8:9], v[128:131]// 00000000920C: D3D70080 1E021140
	buffer_load_dwordx4 a[136:139], v51, s[84:87], 0 offen     // 000000009214: E05C1000 80958833
	v_mfma_i32_16x16x32_i8 v[128:131], a[66:67], a[10:11], v[128:131]// 00000000921C: D3D70080 1E021542
	v_mfma_i32_16x16x32_i8 v[128:131], a[68:69], a[12:13], v[128:131]// 000000009224: D3D70080 1E021944
	v_mfma_i32_16x16x32_i8 v[128:131], a[70:71], a[14:15], v[128:131]// 00000000922C: D3D70080 1E021D46
	v_mfma_i32_16x16x32_i8 v[140:143], a[72:73], a[8:9], v[140:143]// 000000009234: D3D7008C 1E321148
	buffer_load_dwordx4 a[140:143], v51, s[84:87], 0 offen offset:1024// 00000000923C: E05C1400 80958C33
	v_mfma_i32_16x16x32_i8 v[140:143], a[74:75], a[10:11], v[140:143]// 000000009244: D3D7008C 1E32154A
	v_mfma_i32_16x16x32_i8 v[140:143], a[76:77], a[12:13], v[140:143]// 00000000924C: D3D7008C 1E32194C
	v_mfma_i32_16x16x32_i8 v[140:143], a[78:79], a[14:15], v[140:143]// 000000009254: D3D7008C 1E321D4E
	v_mfma_i32_16x16x32_i8 v[108:111], a[48:49], a[16:17], v[108:111]// 00000000925C: D3D7006C 1DB22130
	v_mfma_i32_16x16x32_i8 v[108:111], a[50:51], a[18:19], v[108:111]// 000000009264: D3D7006C 1DB22532
	v_mfma_i32_16x16x32_i8 v[108:111], a[52:53], a[20:21], v[108:111]// 00000000926C: D3D7006C 1DB22934
	v_mfma_i32_16x16x32_i8 v[108:111], a[54:55], a[22:23], v[108:111]// 000000009274: D3D7006C 1DB22D36
	v_mfma_i32_16x16x32_i8 v[120:123], a[56:57], a[16:17], v[120:123]// 00000000927C: D3D70078 1DE22138
	v_mfma_i32_16x16x32_i8 v[120:123], a[58:59], a[18:19], v[120:123]// 000000009284: D3D70078 1DE2253A
	v_mfma_i32_16x16x32_i8 v[120:123], a[60:61], a[20:21], v[120:123]// 00000000928C: D3D70078 1DE2293C
	v_mfma_i32_16x16x32_i8 v[120:123], a[62:63], a[22:23], v[120:123]// 000000009294: D3D70078 1DE22D3E
	v_mfma_i32_16x16x32_i8 v[132:135], a[64:65], a[16:17], v[132:135]// 00000000929C: D3D70084 1E122140
	s_add_u32 s60, 0x180, s80                                  // 0000000092A4: 803C50FF 00000180
	s_cmp_lt_u32 s60, s81                                      // 0000000092AC: BF0A513C
	s_cselect_b32 s57, s57, 0                                  // 0000000092B0: 85398039
	v_mfma_i32_16x16x32_i8 v[132:135], a[66:67], a[18:19], v[132:135]// 0000000092B4: D3D70084 1E122542
	s_add_u32 s60, 0x100, s80                                  // 0000000092BC: 803C50FF 00000100
	s_cmp_lt_u32 s60, s81                                      // 0000000092C4: BF0A513C
	s_cselect_b32 s58, s58, 0                                  // 0000000092C8: 853A803A
	v_mfma_i32_16x16x32_i8 v[132:135], a[68:69], a[20:21], v[132:135]// 0000000092CC: D3D70084 1E122944
	s_add_u32 s60, 0x100, s80                                  // 0000000092D4: 803C50FF 00000100
	s_cmp_lt_u32 s60, s81                                      // 0000000092DC: BF0A513C
	s_cselect_b32 s83, s83, 0                                  // 0000000092E0: 85538053
	v_mfma_i32_16x16x32_i8 v[132:135], a[70:71], a[22:23], v[132:135]// 0000000092E4: D3D70084 1E122D46
	s_add_u32 s24, s58, s24                                    // 0000000092EC: 8018183A
	s_addc_u32 s25, 0, s25                                     // 0000000092F0: 82191980
	v_mfma_i32_16x16x32_i8 v[144:147], a[72:73], a[16:17], v[144:147]// 0000000092F4: D3D70090 1E422148
	s_add_u32 s20, s57, s20                                    // 0000000092FC: 80141439
	s_addc_u32 s21, 0, s21                                     // 000000009300: 82151580
	v_mfma_i32_16x16x32_i8 v[144:147], a[74:75], a[18:19], v[144:147]// 000000009304: D3D70090 1E42254A
	s_add_u32 s84, s83, s84                                    // 00000000930C: 80545453
	s_addc_u32 s85, 0, s85                                     // 000000009310: 82555580
	v_mfma_i32_16x16x32_i8 v[144:147], a[76:77], a[20:21], v[144:147]// 000000009314: D3D70090 1E42294C
	v_mfma_i32_16x16x32_i8 v[144:147], a[78:79], a[22:23], v[144:147]// 00000000931C: D3D70090 1E422D4E
	s_addk_i32 s80, 0x80                                       // 000000009324: B7500080
	s_cmp_lt_i32 s80, s81                                      // 000000009328: BF045150
	s_cbranch_scc0 label_1B6B                                  // 00000000932C: BF84011C
	s_waitcnt vmcnt(14) lgkmcnt(0)                             // 000000009330: BF8C007E
	v_mfma_i32_16x16x32_i8 v[52:55], a[80:81], a[24:25], v[52:55]// 000000009334: D3D70034 1CD23150
	buffer_load_dwordx4 a[48:51], v48, s[24:27], 0 offen       // 00000000933C: E05C1000 80863030
	v_mfma_i32_16x16x32_i8 v[52:55], a[82:83], a[26:27], v[52:55]// 000000009344: D3D70034 1CD23552
	v_mfma_i32_16x16x32_i8 v[52:55], a[84:85], a[28:29], v[52:55]// 00000000934C: D3D70034 1CD23954
	v_mfma_i32_16x16x32_i8 v[52:55], a[86:87], a[30:31], v[52:55]// 000000009354: D3D70034 1CD23D56
	v_mfma_i32_16x16x32_i8 v[64:67], a[88:89], a[24:25], v[64:67]// 00000000935C: D3D70040 1D023158
	buffer_load_dwordx4 a[52:55], v48, s[24:27], 0 offen offset:1024// 000000009364: E05C1400 80863430
	v_mfma_i32_16x16x32_i8 v[64:67], a[90:91], a[26:27], v[64:67]// 00000000936C: D3D70040 1D02355A
	v_mfma_i32_16x16x32_i8 v[64:67], a[92:93], a[28:29], v[64:67]// 000000009374: D3D70040 1D02395C
	v_mfma_i32_16x16x32_i8 v[64:67], a[94:95], a[30:31], v[64:67]// 00000000937C: D3D70040 1D023D5E
	v_mfma_i32_16x16x32_i8 v[76:79], a[96:97], a[24:25], v[76:79]// 000000009384: D3D7004C 1D323160
	buffer_load_dwordx4 a[56:59], v49, s[24:27], 0 offen       // 00000000938C: E05C1000 80863831
	v_mfma_i32_16x16x32_i8 v[76:79], a[98:99], a[26:27], v[76:79]// 000000009394: D3D7004C 1D323562
	v_mfma_i32_16x16x32_i8 v[76:79], a[100:101], a[28:29], v[76:79]// 00000000939C: D3D7004C 1D323964
	v_mfma_i32_16x16x32_i8 v[76:79], a[102:103], a[30:31], v[76:79]// 0000000093A4: D3D7004C 1D323D66
	v_mfma_i32_16x16x32_i8 v[88:91], a[104:105], a[24:25], v[88:91]// 0000000093AC: D3D70058 1D623168
	buffer_load_dwordx4 a[60:63], v49, s[24:27], 0 offen offset:1024// 0000000093B4: E05C1400 80863C31
	v_mfma_i32_16x16x32_i8 v[88:91], a[106:107], a[26:27], v[88:91]// 0000000093BC: D3D70058 1D62356A
	v_mfma_i32_16x16x32_i8 v[88:91], a[108:109], a[28:29], v[88:91]// 0000000093C4: D3D70058 1D62396C
	v_mfma_i32_16x16x32_i8 v[88:91], a[110:111], a[30:31], v[88:91]// 0000000093CC: D3D70058 1D623D6E
	v_mfma_i32_16x16x32_i8 v[56:59], a[80:81], a[32:33], v[56:59]// 0000000093D4: D3D70038 1CE24150
	buffer_load_dwordx4 a[64:67], v50, s[24:27], 0 offen       // 0000000093DC: E05C1000 80864032
	v_mfma_i32_16x16x32_i8 v[56:59], a[82:83], a[34:35], v[56:59]// 0000000093E4: D3D70038 1CE24552
	v_mfma_i32_16x16x32_i8 v[56:59], a[84:85], a[36:37], v[56:59]// 0000000093EC: D3D70038 1CE24954
	v_mfma_i32_16x16x32_i8 v[56:59], a[86:87], a[38:39], v[56:59]// 0000000093F4: D3D70038 1CE24D56
	v_mfma_i32_16x16x32_i8 v[68:71], a[88:89], a[32:33], v[68:71]// 0000000093FC: D3D70044 1D124158
	buffer_load_dwordx4 a[68:71], v50, s[24:27], 0 offen offset:1024// 000000009404: E05C1400 80864432
	v_mfma_i32_16x16x32_i8 v[68:71], a[90:91], a[34:35], v[68:71]// 00000000940C: D3D70044 1D12455A
	v_mfma_i32_16x16x32_i8 v[68:71], a[92:93], a[36:37], v[68:71]// 000000009414: D3D70044 1D12495C
	v_mfma_i32_16x16x32_i8 v[68:71], a[94:95], a[38:39], v[68:71]// 00000000941C: D3D70044 1D124D5E
	v_mfma_i32_16x16x32_i8 v[80:83], a[96:97], a[32:33], v[80:83]// 000000009424: D3D70050 1D424160
	buffer_load_dwordx4 a[72:75], v51, s[24:27], 0 offen       // 00000000942C: E05C1000 80864833
	v_mfma_i32_16x16x32_i8 v[80:83], a[98:99], a[34:35], v[80:83]// 000000009434: D3D70050 1D424562
	v_mfma_i32_16x16x32_i8 v[80:83], a[100:101], a[36:37], v[80:83]// 00000000943C: D3D70050 1D424964
	v_mfma_i32_16x16x32_i8 v[80:83], a[102:103], a[38:39], v[80:83]// 000000009444: D3D70050 1D424D66
	v_mfma_i32_16x16x32_i8 v[92:95], a[104:105], a[32:33], v[92:95]// 00000000944C: D3D7005C 1D724168
	buffer_load_dwordx4 a[76:79], v51, s[24:27], 0 offen offset:1024// 000000009454: E05C1400 80864C33
	buffer_load_dword v42, s[20:23], 0 offen lds               // 00000000945C: E0511000 8005002A
	s_add_u32 m0, 0x100, s49                                   // 000000009464: 807C31FF 00000100
	v_mfma_i32_16x16x32_i8 v[92:95], a[106:107], a[34:35], v[92:95]// 00000000946C: D3D7005C 1D72456A
	v_mfma_i32_16x16x32_i8 v[92:95], a[108:109], a[36:37], v[92:95]// 000000009474: D3D7005C 1D72496C
	buffer_load_dword v43, s[20:23], 0 offen lds               // 00000000947C: E0511000 8005002B
	s_add_u32 m0, 0x200, s49                                   // 000000009484: 807C31FF 00000200
	v_mfma_i32_16x16x32_i8 v[92:95], a[110:111], a[38:39], v[92:95]// 00000000948C: D3D7005C 1D724D6E
	v_mfma_i32_16x16x32_i8 v[60:63], a[80:81], a[40:41], v[60:63]// 000000009494: D3D7003C 1CF25150
	buffer_load_dword v44, s[20:23], 0 offen lds               // 00000000949C: E0511000 8005002C
	s_add_u32 m0, 0x300, s49                                   // 0000000094A4: 807C31FF 00000300
	v_mfma_i32_16x16x32_i8 v[60:63], a[82:83], a[42:43], v[60:63]// 0000000094AC: D3D7003C 1CF25552
	v_mfma_i32_16x16x32_i8 v[60:63], a[84:85], a[44:45], v[60:63]// 0000000094B4: D3D7003C 1CF25954
	buffer_load_dword v45, s[20:23], 0 offen lds               // 0000000094BC: E0511000 8005002D
	s_add_u32 m0, 0x400, s49                                   // 0000000094C4: 807C31FF 00000400
	v_mfma_i32_16x16x32_i8 v[60:63], a[86:87], a[46:47], v[60:63]// 0000000094CC: D3D7003C 1CF25D56
	v_mfma_i32_16x16x32_i8 v[72:75], a[88:89], a[40:41], v[72:75]// 0000000094D4: D3D70048 1D225158
	buffer_load_dword v46, s[20:23], 0 offen lds               // 0000000094DC: E0511000 8005002E
	s_add_u32 m0, 0x500, s49                                   // 0000000094E4: 807C31FF 00000500
	v_mfma_i32_16x16x32_i8 v[72:75], a[90:91], a[42:43], v[72:75]// 0000000094EC: D3D70048 1D22555A
	v_mfma_i32_16x16x32_i8 v[72:75], a[92:93], a[44:45], v[72:75]// 0000000094F4: D3D70048 1D22595C
	buffer_load_dword v47, s[20:23], 0 offen lds               // 0000000094FC: E0511000 8005002F
	s_add_u32 m0, 0, s50                                       // 000000009504: 807C3280
	v_mfma_i32_16x16x32_i8 v[72:75], a[94:95], a[46:47], v[72:75]// 000000009508: D3D70048 1D225D5E
	v_mfma_i32_16x16x32_i8 v[84:87], a[96:97], a[40:41], v[84:87]// 000000009510: D3D70054 1D525160
	v_mfma_i32_16x16x32_i8 v[84:87], a[98:99], a[42:43], v[84:87]// 000000009518: D3D70054 1D525562
	v_mfma_i32_16x16x32_i8 v[84:87], a[100:101], a[44:45], v[84:87]// 000000009520: D3D70054 1D525964
	v_mfma_i32_16x16x32_i8 v[84:87], a[102:103], a[46:47], v[84:87]// 000000009528: D3D70054 1D525D66
	v_mfma_i32_16x16x32_i8 v[96:99], a[104:105], a[40:41], v[96:99]// 000000009530: D3D70060 1D825168
	v_mfma_i32_16x16x32_i8 v[96:99], a[106:107], a[42:43], v[96:99]// 000000009538: D3D70060 1D82556A
	v_mfma_i32_16x16x32_i8 v[96:99], a[108:109], a[44:45], v[96:99]// 000000009540: D3D70060 1D82596C
	v_mfma_i32_16x16x32_i8 v[96:99], a[110:111], a[46:47], v[96:99]// 000000009548: D3D70060 1D825D6E
	s_waitcnt vmcnt(14)                                        // 000000009550: BF8C0F7E
	s_barrier                                                  // 000000009554: BF8A0000
	v_mfma_i32_16x16x32_i8 v[100:103], a[112:113], a[24:25], v[100:103]// 000000009558: D3D70064 1D923170
	buffer_load_dwordx4 a[80:83], v48, s[84:87], 0 offen       // 000000009560: E05C1000 80955030
	v_mfma_i32_16x16x32_i8 v[100:103], a[114:115], a[26:27], v[100:103]// 000000009568: D3D70064 1D923572
	v_mfma_i32_16x16x32_i8 v[100:103], a[116:117], a[28:29], v[100:103]// 000000009570: D3D70064 1D923974
	ds_read_b128 a[0:3], v2                                    // 000000009578: DBFE0000 00000002
	ds_read_b128 a[4:7], v2 offset:64                          // 000000009580: DBFE0040 04000002
	v_mfma_i32_16x16x32_i8 v[100:103], a[118:119], a[30:31], v[100:103]// 000000009588: D3D70064 1D923D76
	v_mfma_i32_16x16x32_i8 v[112:115], a[120:121], a[24:25], v[112:115]// 000000009590: D3D70070 1DC23178
	buffer_load_dwordx4 a[84:87], v48, s[84:87], 0 offen offset:1024// 000000009598: E05C1400 80955430
	v_mfma_i32_16x16x32_i8 v[112:115], a[122:123], a[26:27], v[112:115]// 0000000095A0: D3D70070 1DC2357A
	v_mfma_i32_16x16x32_i8 v[112:115], a[124:125], a[28:29], v[112:115]// 0000000095A8: D3D70070 1DC2397C
	ds_read_b128 a[8:11], v2 offset:512                        // 0000000095B0: DBFE0200 08000002
	ds_read_b128 a[12:15], v2 offset:576                       // 0000000095B8: DBFE0240 0C000002
	v_mfma_i32_16x16x32_i8 v[112:115], a[126:127], a[30:31], v[112:115]// 0000000095C0: D3D70070 1DC23D7E
	v_mfma_i32_16x16x32_i8 v[124:127], a[128:129], a[24:25], v[124:127]// 0000000095C8: D3D7007C 1DF23180
	buffer_load_dwordx4 a[88:91], v49, s[84:87], 0 offen       // 0000000095D0: E05C1000 80955831
	v_mfma_i32_16x16x32_i8 v[124:127], a[130:131], a[26:27], v[124:127]// 0000000095D8: D3D7007C 1DF23582
	v_mfma_i32_16x16x32_i8 v[124:127], a[132:133], a[28:29], v[124:127]// 0000000095E0: D3D7007C 1DF23984
	ds_read_b128 a[16:19], v2 offset:1024                      // 0000000095E8: DBFE0400 10000002
	ds_read_b128 a[20:23], v2 offset:1088                      // 0000000095F0: DBFE0440 14000002
	v_mfma_i32_16x16x32_i8 v[124:127], a[134:135], a[30:31], v[124:127]// 0000000095F8: D3D7007C 1DF23D86
	v_mfma_i32_16x16x32_i8 v[136:139], a[136:137], a[24:25], v[136:139]// 000000009600: D3D70088 1E223188
	buffer_load_dwordx4 a[92:95], v49, s[84:87], 0 offen offset:1024// 000000009608: E05C1400 80955C31
	v_mfma_i32_16x16x32_i8 v[136:139], a[138:139], a[26:27], v[136:139]// 000000009610: D3D70088 1E22358A
	v_mfma_i32_16x16x32_i8 v[136:139], a[140:141], a[28:29], v[136:139]// 000000009618: D3D70088 1E22398C
	v_mfma_i32_16x16x32_i8 v[136:139], a[142:143], a[30:31], v[136:139]// 000000009620: D3D70088 1E223D8E
	v_mfma_i32_16x16x32_i8 v[104:107], a[112:113], a[32:33], v[104:107]// 000000009628: D3D70068 1DA24170
	buffer_load_dwordx4 a[96:99], v50, s[84:87], 0 offen       // 000000009630: E05C1000 80956032
	v_mfma_i32_16x16x32_i8 v[104:107], a[114:115], a[34:35], v[104:107]// 000000009638: D3D70068 1DA24572
	v_mfma_i32_16x16x32_i8 v[104:107], a[116:117], a[36:37], v[104:107]// 000000009640: D3D70068 1DA24974
	v_mfma_i32_16x16x32_i8 v[104:107], a[118:119], a[38:39], v[104:107]// 000000009648: D3D70068 1DA24D76
	v_mfma_i32_16x16x32_i8 v[116:119], a[120:121], a[32:33], v[116:119]// 000000009650: D3D70074 1DD24178
	buffer_load_dwordx4 a[100:103], v50, s[84:87], 0 offen offset:1024// 000000009658: E05C1400 80956432
	v_mfma_i32_16x16x32_i8 v[116:119], a[122:123], a[34:35], v[116:119]// 000000009660: D3D70074 1DD2457A
	v_mfma_i32_16x16x32_i8 v[116:119], a[124:125], a[36:37], v[116:119]// 000000009668: D3D70074 1DD2497C
	v_mfma_i32_16x16x32_i8 v[116:119], a[126:127], a[38:39], v[116:119]// 000000009670: D3D70074 1DD24D7E
	v_mfma_i32_16x16x32_i8 v[128:131], a[128:129], a[32:33], v[128:131]// 000000009678: D3D70080 1E024180
	buffer_load_dwordx4 a[104:107], v51, s[84:87], 0 offen     // 000000009680: E05C1000 80956833
	v_mfma_i32_16x16x32_i8 v[128:131], a[130:131], a[34:35], v[128:131]// 000000009688: D3D70080 1E024582
	v_mfma_i32_16x16x32_i8 v[128:131], a[132:133], a[36:37], v[128:131]// 000000009690: D3D70080 1E024984
	v_mfma_i32_16x16x32_i8 v[128:131], a[134:135], a[38:39], v[128:131]// 000000009698: D3D70080 1E024D86
	v_mfma_i32_16x16x32_i8 v[140:143], a[136:137], a[32:33], v[140:143]// 0000000096A0: D3D7008C 1E324188
	buffer_load_dwordx4 a[108:111], v51, s[84:87], 0 offen offset:1024// 0000000096A8: E05C1400 80956C33
	v_mfma_i32_16x16x32_i8 v[140:143], a[138:139], a[34:35], v[140:143]// 0000000096B0: D3D7008C 1E32458A
	v_mfma_i32_16x16x32_i8 v[140:143], a[140:141], a[36:37], v[140:143]// 0000000096B8: D3D7008C 1E32498C
	v_mfma_i32_16x16x32_i8 v[140:143], a[142:143], a[38:39], v[140:143]// 0000000096C0: D3D7008C 1E324D8E
	v_mfma_i32_16x16x32_i8 v[108:111], a[112:113], a[40:41], v[108:111]// 0000000096C8: D3D7006C 1DB25170
	v_mfma_i32_16x16x32_i8 v[108:111], a[114:115], a[42:43], v[108:111]// 0000000096D0: D3D7006C 1DB25572
	v_mfma_i32_16x16x32_i8 v[108:111], a[116:117], a[44:45], v[108:111]// 0000000096D8: D3D7006C 1DB25974
	v_mfma_i32_16x16x32_i8 v[108:111], a[118:119], a[46:47], v[108:111]// 0000000096E0: D3D7006C 1DB25D76
	v_mfma_i32_16x16x32_i8 v[120:123], a[120:121], a[40:41], v[120:123]// 0000000096E8: D3D70078 1DE25178
	v_mfma_i32_16x16x32_i8 v[120:123], a[122:123], a[42:43], v[120:123]// 0000000096F0: D3D70078 1DE2557A
	v_mfma_i32_16x16x32_i8 v[120:123], a[124:125], a[44:45], v[120:123]// 0000000096F8: D3D70078 1DE2597C
	v_mfma_i32_16x16x32_i8 v[120:123], a[126:127], a[46:47], v[120:123]// 000000009700: D3D70078 1DE25D7E
	v_mfma_i32_16x16x32_i8 v[132:135], a[128:129], a[40:41], v[132:135]// 000000009708: D3D70084 1E125180
	s_add_u32 s60, 0x180, s80                                  // 000000009710: 803C50FF 00000180
	s_cmp_lt_u32 s60, s81                                      // 000000009718: BF0A513C
	s_cselect_b32 s57, s57, 0                                  // 00000000971C: 85398039
	v_mfma_i32_16x16x32_i8 v[132:135], a[130:131], a[42:43], v[132:135]// 000000009720: D3D70084 1E125582
	s_add_u32 s60, 0x100, s80                                  // 000000009728: 803C50FF 00000100
	s_cmp_lt_u32 s60, s81                                      // 000000009730: BF0A513C
	s_cselect_b32 s58, s58, 0                                  // 000000009734: 853A803A
	v_mfma_i32_16x16x32_i8 v[132:135], a[132:133], a[44:45], v[132:135]// 000000009738: D3D70084 1E125984
	s_add_u32 s60, 0x100, s80                                  // 000000009740: 803C50FF 00000100
	s_cmp_lt_u32 s60, s81                                      // 000000009748: BF0A513C
	s_cselect_b32 s83, s83, 0                                  // 00000000974C: 85538053
	v_mfma_i32_16x16x32_i8 v[132:135], a[134:135], a[46:47], v[132:135]// 000000009750: D3D70084 1E125D86
	s_add_u32 s24, s58, s24                                    // 000000009758: 8018183A
	s_addc_u32 s25, 0, s25                                     // 00000000975C: 82191980
	v_mfma_i32_16x16x32_i8 v[144:147], a[136:137], a[40:41], v[144:147]// 000000009760: D3D70090 1E425188
	s_add_u32 s20, s57, s20                                    // 000000009768: 80141439
	s_addc_u32 s21, 0, s21                                     // 00000000976C: 82151580
	v_mfma_i32_16x16x32_i8 v[144:147], a[138:139], a[42:43], v[144:147]// 000000009770: D3D70090 1E42558A
	s_add_u32 s84, s83, s84                                    // 000000009778: 80545453
	s_addc_u32 s85, 0, s85                                     // 00000000977C: 82555580
	v_mfma_i32_16x16x32_i8 v[144:147], a[140:141], a[44:45], v[144:147]// 000000009780: D3D70090 1E42598C
	v_mfma_i32_16x16x32_i8 v[144:147], a[142:143], a[46:47], v[144:147]// 000000009788: D3D70090 1E425D8E
	s_addk_i32 s80, 0x80                                       // 000000009790: B7500080
	s_cmp_lt_i32 s80, s81                                      // 000000009794: BF045150
	s_cbranch_scc0 label_1B6B                                  // 000000009798: BF840001
	s_branch label_14C8                                        // 00000000979C: BF82F95D

00000000000097a0 <label_1B6B>:
	v_cvt_f32_i32_e32 v52, v52                                 // 0000000097A0: 7E680B34
	v_cvt_f32_i32_e32 v53, v53                                 // 0000000097A4: 7E6A0B35
	v_cvt_f32_i32_e32 v54, v54                                 // 0000000097A8: 7E6C0B36
	v_cvt_f32_i32_e32 v55, v55                                 // 0000000097AC: 7E6E0B37
	v_mul_f32_dpp v52, v24, v52 row_newbcast:0 row_mask:0xf bank_mask:0xf// 0000000097B0: 0A6868FA FF015018
	v_mul_f32_dpp v53, v24, v53 row_newbcast:1 row_mask:0xf bank_mask:0xf// 0000000097B8: 0A6A6AFA FF015118
	v_mul_f32_dpp v54, v24, v54 row_newbcast:2 row_mask:0xf bank_mask:0xf// 0000000097C0: 0A6C6CFA FF015218
	v_mul_f32_dpp v55, v24, v55 row_newbcast:3 row_mask:0xf bank_mask:0xf// 0000000097C8: 0A6E6EFA FF015318
	v_cvt_f32_i32_e32 v56, v56                                 // 0000000097D0: 7E700B38
	v_cvt_f32_i32_e32 v57, v57                                 // 0000000097D4: 7E720B39
	v_cvt_f32_i32_e32 v58, v58                                 // 0000000097D8: 7E740B3A
	v_cvt_f32_i32_e32 v59, v59                                 // 0000000097DC: 7E760B3B
	v_mul_f32_dpp v56, v24, v56 row_newbcast:0 row_mask:0xf bank_mask:0xf// 0000000097E0: 0A7070FA FF015018
	v_mul_f32_dpp v57, v24, v57 row_newbcast:1 row_mask:0xf bank_mask:0xf// 0000000097E8: 0A7272FA FF015118
	v_mul_f32_dpp v58, v24, v58 row_newbcast:2 row_mask:0xf bank_mask:0xf// 0000000097F0: 0A7474FA FF015218
	v_mul_f32_dpp v59, v24, v59 row_newbcast:3 row_mask:0xf bank_mask:0xf// 0000000097F8: 0A7676FA FF015318
	v_cvt_f32_i32_e32 v60, v60                                 // 000000009800: 7E780B3C
	v_cvt_f32_i32_e32 v61, v61                                 // 000000009804: 7E7A0B3D
	v_cvt_f32_i32_e32 v62, v62                                 // 000000009808: 7E7C0B3E
	v_cvt_f32_i32_e32 v63, v63                                 // 00000000980C: 7E7E0B3F
	v_mul_f32_dpp v60, v24, v60 row_newbcast:0 row_mask:0xf bank_mask:0xf// 000000009810: 0A7878FA FF015018
	v_mul_f32_dpp v61, v24, v61 row_newbcast:1 row_mask:0xf bank_mask:0xf// 000000009818: 0A7A7AFA FF015118
	v_mul_f32_dpp v62, v24, v62 row_newbcast:2 row_mask:0xf bank_mask:0xf// 000000009820: 0A7C7CFA FF015218
	v_mul_f32_dpp v63, v24, v63 row_newbcast:3 row_mask:0xf bank_mask:0xf// 000000009828: 0A7E7EFA FF015318
	v_cvt_f32_i32_e32 v64, v64                                 // 000000009830: 7E800B40
	v_cvt_f32_i32_e32 v65, v65                                 // 000000009834: 7E820B41
	v_cvt_f32_i32_e32 v66, v66                                 // 000000009838: 7E840B42
	v_cvt_f32_i32_e32 v67, v67                                 // 00000000983C: 7E860B43
	v_mul_f32_dpp v64, v24, v64 row_newbcast:4 row_mask:0xf bank_mask:0xf// 000000009840: 0A8080FA FF015418
	v_mul_f32_dpp v65, v24, v65 row_newbcast:5 row_mask:0xf bank_mask:0xf// 000000009848: 0A8282FA FF015518
	v_mul_f32_dpp v66, v24, v66 row_newbcast:6 row_mask:0xf bank_mask:0xf// 000000009850: 0A8484FA FF015618
	v_mul_f32_dpp v67, v24, v67 row_newbcast:7 row_mask:0xf bank_mask:0xf// 000000009858: 0A8686FA FF015718
	v_cvt_f32_i32_e32 v68, v68                                 // 000000009860: 7E880B44
	v_cvt_f32_i32_e32 v69, v69                                 // 000000009864: 7E8A0B45
	v_cvt_f32_i32_e32 v70, v70                                 // 000000009868: 7E8C0B46
	v_cvt_f32_i32_e32 v71, v71                                 // 00000000986C: 7E8E0B47
	v_mul_f32_dpp v68, v24, v68 row_newbcast:4 row_mask:0xf bank_mask:0xf// 000000009870: 0A8888FA FF015418
	v_mul_f32_dpp v69, v24, v69 row_newbcast:5 row_mask:0xf bank_mask:0xf// 000000009878: 0A8A8AFA FF015518
	v_mul_f32_dpp v70, v24, v70 row_newbcast:6 row_mask:0xf bank_mask:0xf// 000000009880: 0A8C8CFA FF015618
	v_mul_f32_dpp v71, v24, v71 row_newbcast:7 row_mask:0xf bank_mask:0xf// 000000009888: 0A8E8EFA FF015718
	v_cvt_f32_i32_e32 v72, v72                                 // 000000009890: 7E900B48
	v_cvt_f32_i32_e32 v73, v73                                 // 000000009894: 7E920B49
	v_cvt_f32_i32_e32 v74, v74                                 // 000000009898: 7E940B4A
	v_cvt_f32_i32_e32 v75, v75                                 // 00000000989C: 7E960B4B
	v_mul_f32_dpp v72, v24, v72 row_newbcast:4 row_mask:0xf bank_mask:0xf// 0000000098A0: 0A9090FA FF015418
	v_mul_f32_dpp v73, v24, v73 row_newbcast:5 row_mask:0xf bank_mask:0xf// 0000000098A8: 0A9292FA FF015518
	v_mul_f32_dpp v74, v24, v74 row_newbcast:6 row_mask:0xf bank_mask:0xf// 0000000098B0: 0A9494FA FF015618
	v_mul_f32_dpp v75, v24, v75 row_newbcast:7 row_mask:0xf bank_mask:0xf// 0000000098B8: 0A9696FA FF015718
	v_cvt_f32_i32_e32 v76, v76                                 // 0000000098C0: 7E980B4C
	v_cvt_f32_i32_e32 v77, v77                                 // 0000000098C4: 7E9A0B4D
	v_cvt_f32_i32_e32 v78, v78                                 // 0000000098C8: 7E9C0B4E
	v_cvt_f32_i32_e32 v79, v79                                 // 0000000098CC: 7E9E0B4F
	v_mul_f32_dpp v76, v24, v76 row_newbcast:8 row_mask:0xf bank_mask:0xf// 0000000098D0: 0A9898FA FF015818
	v_mul_f32_dpp v77, v24, v77 row_newbcast:9 row_mask:0xf bank_mask:0xf// 0000000098D8: 0A9A9AFA FF015918
	v_mul_f32_dpp v78, v24, v78 row_newbcast:10 row_mask:0xf bank_mask:0xf// 0000000098E0: 0A9C9CFA FF015A18
	v_mul_f32_dpp v79, v24, v79 row_newbcast:11 row_mask:0xf bank_mask:0xf// 0000000098E8: 0A9E9EFA FF015B18
	v_cvt_f32_i32_e32 v80, v80                                 // 0000000098F0: 7EA00B50
	v_cvt_f32_i32_e32 v81, v81                                 // 0000000098F4: 7EA20B51
	v_cvt_f32_i32_e32 v82, v82                                 // 0000000098F8: 7EA40B52
	v_cvt_f32_i32_e32 v83, v83                                 // 0000000098FC: 7EA60B53
	v_mul_f32_dpp v80, v24, v80 row_newbcast:8 row_mask:0xf bank_mask:0xf// 000000009900: 0AA0A0FA FF015818
	v_mul_f32_dpp v81, v24, v81 row_newbcast:9 row_mask:0xf bank_mask:0xf// 000000009908: 0AA2A2FA FF015918
	v_mul_f32_dpp v82, v24, v82 row_newbcast:10 row_mask:0xf bank_mask:0xf// 000000009910: 0AA4A4FA FF015A18
	v_mul_f32_dpp v83, v24, v83 row_newbcast:11 row_mask:0xf bank_mask:0xf// 000000009918: 0AA6A6FA FF015B18
	v_cvt_f32_i32_e32 v84, v84                                 // 000000009920: 7EA80B54
	v_cvt_f32_i32_e32 v85, v85                                 // 000000009924: 7EAA0B55
	v_cvt_f32_i32_e32 v86, v86                                 // 000000009928: 7EAC0B56
	v_cvt_f32_i32_e32 v87, v87                                 // 00000000992C: 7EAE0B57
	v_mul_f32_dpp v84, v24, v84 row_newbcast:8 row_mask:0xf bank_mask:0xf// 000000009930: 0AA8A8FA FF015818
	v_mul_f32_dpp v85, v24, v85 row_newbcast:9 row_mask:0xf bank_mask:0xf// 000000009938: 0AAAAAFA FF015918
	v_mul_f32_dpp v86, v24, v86 row_newbcast:10 row_mask:0xf bank_mask:0xf// 000000009940: 0AACACFA FF015A18
	v_mul_f32_dpp v87, v24, v87 row_newbcast:11 row_mask:0xf bank_mask:0xf// 000000009948: 0AAEAEFA FF015B18
	v_cvt_f32_i32_e32 v88, v88                                 // 000000009950: 7EB00B58
	v_cvt_f32_i32_e32 v89, v89                                 // 000000009954: 7EB20B59
	v_cvt_f32_i32_e32 v90, v90                                 // 000000009958: 7EB40B5A
	v_cvt_f32_i32_e32 v91, v91                                 // 00000000995C: 7EB60B5B
	v_mul_f32_dpp v88, v24, v88 row_newbcast:12 row_mask:0xf bank_mask:0xf// 000000009960: 0AB0B0FA FF015C18
	v_mul_f32_dpp v89, v24, v89 row_newbcast:13 row_mask:0xf bank_mask:0xf// 000000009968: 0AB2B2FA FF015D18
	v_mul_f32_dpp v90, v24, v90 row_newbcast:14 row_mask:0xf bank_mask:0xf// 000000009970: 0AB4B4FA FF015E18
	v_mul_f32_dpp v91, v24, v91 row_newbcast:15 row_mask:0xf bank_mask:0xf// 000000009978: 0AB6B6FA FF015F18
	v_cvt_f32_i32_e32 v92, v92                                 // 000000009980: 7EB80B5C
	v_cvt_f32_i32_e32 v93, v93                                 // 000000009984: 7EBA0B5D
	v_cvt_f32_i32_e32 v94, v94                                 // 000000009988: 7EBC0B5E
	v_cvt_f32_i32_e32 v95, v95                                 // 00000000998C: 7EBE0B5F
	v_mul_f32_dpp v92, v24, v92 row_newbcast:12 row_mask:0xf bank_mask:0xf// 000000009990: 0AB8B8FA FF015C18
	v_mul_f32_dpp v93, v24, v93 row_newbcast:13 row_mask:0xf bank_mask:0xf// 000000009998: 0ABABAFA FF015D18
	v_mul_f32_dpp v94, v24, v94 row_newbcast:14 row_mask:0xf bank_mask:0xf// 0000000099A0: 0ABCBCFA FF015E18
	v_mul_f32_dpp v95, v24, v95 row_newbcast:15 row_mask:0xf bank_mask:0xf// 0000000099A8: 0ABEBEFA FF015F18
	v_cvt_f32_i32_e32 v96, v96                                 // 0000000099B0: 7EC00B60
	v_cvt_f32_i32_e32 v97, v97                                 // 0000000099B4: 7EC20B61
	v_cvt_f32_i32_e32 v98, v98                                 // 0000000099B8: 7EC40B62
	v_cvt_f32_i32_e32 v99, v99                                 // 0000000099BC: 7EC60B63
	v_mul_f32_dpp v96, v24, v96 row_newbcast:12 row_mask:0xf bank_mask:0xf// 0000000099C0: 0AC0C0FA FF015C18
	v_mul_f32_dpp v97, v24, v97 row_newbcast:13 row_mask:0xf bank_mask:0xf// 0000000099C8: 0AC2C2FA FF015D18
	v_mul_f32_dpp v98, v24, v98 row_newbcast:14 row_mask:0xf bank_mask:0xf// 0000000099D0: 0AC4C4FA FF015E18
	v_mul_f32_dpp v99, v24, v99 row_newbcast:15 row_mask:0xf bank_mask:0xf// 0000000099D8: 0AC6C6FA FF015F18
	v_cvt_f32_i32_e32 v100, v100                               // 0000000099E0: 7EC80B64
	v_cvt_f32_i32_e32 v101, v101                               // 0000000099E4: 7ECA0B65
	v_cvt_f32_i32_e32 v102, v102                               // 0000000099E8: 7ECC0B66
	v_cvt_f32_i32_e32 v103, v103                               // 0000000099EC: 7ECE0B67
	v_mul_f32_dpp v100, v27, v100 row_newbcast:0 row_mask:0xf bank_mask:0xf// 0000000099F0: 0AC8C8FA FF01501B
	v_mul_f32_dpp v101, v27, v101 row_newbcast:1 row_mask:0xf bank_mask:0xf// 0000000099F8: 0ACACAFA FF01511B
	v_mul_f32_dpp v102, v27, v102 row_newbcast:2 row_mask:0xf bank_mask:0xf// 000000009A00: 0ACCCCFA FF01521B
	v_mul_f32_dpp v103, v27, v103 row_newbcast:3 row_mask:0xf bank_mask:0xf// 000000009A08: 0ACECEFA FF01531B
	v_cvt_f32_i32_e32 v104, v104                               // 000000009A10: 7ED00B68
	v_cvt_f32_i32_e32 v105, v105                               // 000000009A14: 7ED20B69
	v_cvt_f32_i32_e32 v106, v106                               // 000000009A18: 7ED40B6A
	v_cvt_f32_i32_e32 v107, v107                               // 000000009A1C: 7ED60B6B
	v_mul_f32_dpp v104, v27, v104 row_newbcast:0 row_mask:0xf bank_mask:0xf// 000000009A20: 0AD0D0FA FF01501B
	v_mul_f32_dpp v105, v27, v105 row_newbcast:1 row_mask:0xf bank_mask:0xf// 000000009A28: 0AD2D2FA FF01511B
	v_mul_f32_dpp v106, v27, v106 row_newbcast:2 row_mask:0xf bank_mask:0xf// 000000009A30: 0AD4D4FA FF01521B
	v_mul_f32_dpp v107, v27, v107 row_newbcast:3 row_mask:0xf bank_mask:0xf// 000000009A38: 0AD6D6FA FF01531B
	v_cvt_f32_i32_e32 v108, v108                               // 000000009A40: 7ED80B6C
	v_cvt_f32_i32_e32 v109, v109                               // 000000009A44: 7EDA0B6D
	v_cvt_f32_i32_e32 v110, v110                               // 000000009A48: 7EDC0B6E
	v_cvt_f32_i32_e32 v111, v111                               // 000000009A4C: 7EDE0B6F
	v_mul_f32_dpp v108, v27, v108 row_newbcast:0 row_mask:0xf bank_mask:0xf// 000000009A50: 0AD8D8FA FF01501B
	v_mul_f32_dpp v109, v27, v109 row_newbcast:1 row_mask:0xf bank_mask:0xf// 000000009A58: 0ADADAFA FF01511B
	v_mul_f32_dpp v110, v27, v110 row_newbcast:2 row_mask:0xf bank_mask:0xf// 000000009A60: 0ADCDCFA FF01521B
	v_mul_f32_dpp v111, v27, v111 row_newbcast:3 row_mask:0xf bank_mask:0xf// 000000009A68: 0ADEDEFA FF01531B
	v_cvt_f32_i32_e32 v112, v112                               // 000000009A70: 7EE00B70
	v_cvt_f32_i32_e32 v113, v113                               // 000000009A74: 7EE20B71
	v_cvt_f32_i32_e32 v114, v114                               // 000000009A78: 7EE40B72
	v_cvt_f32_i32_e32 v115, v115                               // 000000009A7C: 7EE60B73
	v_mul_f32_dpp v112, v27, v112 row_newbcast:4 row_mask:0xf bank_mask:0xf// 000000009A80: 0AE0E0FA FF01541B
	v_mul_f32_dpp v113, v27, v113 row_newbcast:5 row_mask:0xf bank_mask:0xf// 000000009A88: 0AE2E2FA FF01551B
	v_mul_f32_dpp v114, v27, v114 row_newbcast:6 row_mask:0xf bank_mask:0xf// 000000009A90: 0AE4E4FA FF01561B
	v_mul_f32_dpp v115, v27, v115 row_newbcast:7 row_mask:0xf bank_mask:0xf// 000000009A98: 0AE6E6FA FF01571B
	v_cvt_f32_i32_e32 v116, v116                               // 000000009AA0: 7EE80B74
	v_cvt_f32_i32_e32 v117, v117                               // 000000009AA4: 7EEA0B75
	v_cvt_f32_i32_e32 v118, v118                               // 000000009AA8: 7EEC0B76
	v_cvt_f32_i32_e32 v119, v119                               // 000000009AAC: 7EEE0B77
	v_mul_f32_dpp v116, v27, v116 row_newbcast:4 row_mask:0xf bank_mask:0xf// 000000009AB0: 0AE8E8FA FF01541B
	v_mul_f32_dpp v117, v27, v117 row_newbcast:5 row_mask:0xf bank_mask:0xf// 000000009AB8: 0AEAEAFA FF01551B
	v_mul_f32_dpp v118, v27, v118 row_newbcast:6 row_mask:0xf bank_mask:0xf// 000000009AC0: 0AECECFA FF01561B
	v_mul_f32_dpp v119, v27, v119 row_newbcast:7 row_mask:0xf bank_mask:0xf// 000000009AC8: 0AEEEEFA FF01571B
	v_cvt_f32_i32_e32 v120, v120                               // 000000009AD0: 7EF00B78
	v_cvt_f32_i32_e32 v121, v121                               // 000000009AD4: 7EF20B79
	v_cvt_f32_i32_e32 v122, v122                               // 000000009AD8: 7EF40B7A
	v_cvt_f32_i32_e32 v123, v123                               // 000000009ADC: 7EF60B7B
	v_mul_f32_dpp v120, v27, v120 row_newbcast:4 row_mask:0xf bank_mask:0xf// 000000009AE0: 0AF0F0FA FF01541B
	v_mul_f32_dpp v121, v27, v121 row_newbcast:5 row_mask:0xf bank_mask:0xf// 000000009AE8: 0AF2F2FA FF01551B
	v_mul_f32_dpp v122, v27, v122 row_newbcast:6 row_mask:0xf bank_mask:0xf// 000000009AF0: 0AF4F4FA FF01561B
	v_mul_f32_dpp v123, v27, v123 row_newbcast:7 row_mask:0xf bank_mask:0xf// 000000009AF8: 0AF6F6FA FF01571B
	v_cvt_f32_i32_e32 v124, v124                               // 000000009B00: 7EF80B7C
	v_cvt_f32_i32_e32 v125, v125                               // 000000009B04: 7EFA0B7D
	v_cvt_f32_i32_e32 v126, v126                               // 000000009B08: 7EFC0B7E
	v_cvt_f32_i32_e32 v127, v127                               // 000000009B0C: 7EFE0B7F
	v_mul_f32_dpp v124, v27, v124 row_newbcast:8 row_mask:0xf bank_mask:0xf// 000000009B10: 0AF8F8FA FF01581B
	v_mul_f32_dpp v125, v27, v125 row_newbcast:9 row_mask:0xf bank_mask:0xf// 000000009B18: 0AFAFAFA FF01591B
	v_mul_f32_dpp v126, v27, v126 row_newbcast:10 row_mask:0xf bank_mask:0xf// 000000009B20: 0AFCFCFA FF015A1B
	v_mul_f32_dpp v127, v27, v127 row_newbcast:11 row_mask:0xf bank_mask:0xf// 000000009B28: 0AFEFEFA FF015B1B
	v_cvt_f32_i32_e32 v128, v128                               // 000000009B30: 7F000B80
	v_cvt_f32_i32_e32 v129, v129                               // 000000009B34: 7F020B81
	v_cvt_f32_i32_e32 v130, v130                               // 000000009B38: 7F040B82
	v_cvt_f32_i32_e32 v131, v131                               // 000000009B3C: 7F060B83
	v_mul_f32_dpp v128, v27, v128 row_newbcast:8 row_mask:0xf bank_mask:0xf// 000000009B40: 0B0100FA FF01581B
	v_mul_f32_dpp v129, v27, v129 row_newbcast:9 row_mask:0xf bank_mask:0xf// 000000009B48: 0B0302FA FF01591B
	v_mul_f32_dpp v130, v27, v130 row_newbcast:10 row_mask:0xf bank_mask:0xf// 000000009B50: 0B0504FA FF015A1B
	v_mul_f32_dpp v131, v27, v131 row_newbcast:11 row_mask:0xf bank_mask:0xf// 000000009B58: 0B0706FA FF015B1B
	v_cvt_f32_i32_e32 v132, v132                               // 000000009B60: 7F080B84
	v_cvt_f32_i32_e32 v133, v133                               // 000000009B64: 7F0A0B85
	v_cvt_f32_i32_e32 v134, v134                               // 000000009B68: 7F0C0B86
	v_cvt_f32_i32_e32 v135, v135                               // 000000009B6C: 7F0E0B87
	v_mul_f32_dpp v132, v27, v132 row_newbcast:8 row_mask:0xf bank_mask:0xf// 000000009B70: 0B0908FA FF01581B
	v_mul_f32_dpp v133, v27, v133 row_newbcast:9 row_mask:0xf bank_mask:0xf// 000000009B78: 0B0B0AFA FF01591B
	v_mul_f32_dpp v134, v27, v134 row_newbcast:10 row_mask:0xf bank_mask:0xf// 000000009B80: 0B0D0CFA FF015A1B
	v_mul_f32_dpp v135, v27, v135 row_newbcast:11 row_mask:0xf bank_mask:0xf// 000000009B88: 0B0F0EFA FF015B1B
	v_cvt_f32_i32_e32 v136, v136                               // 000000009B90: 7F100B88
	v_cvt_f32_i32_e32 v137, v137                               // 000000009B94: 7F120B89
	v_cvt_f32_i32_e32 v138, v138                               // 000000009B98: 7F140B8A
	v_cvt_f32_i32_e32 v139, v139                               // 000000009B9C: 7F160B8B
	v_mul_f32_dpp v136, v27, v136 row_newbcast:12 row_mask:0xf bank_mask:0xf// 000000009BA0: 0B1110FA FF015C1B
	v_mul_f32_dpp v137, v27, v137 row_newbcast:13 row_mask:0xf bank_mask:0xf// 000000009BA8: 0B1312FA FF015D1B
	v_mul_f32_dpp v138, v27, v138 row_newbcast:14 row_mask:0xf bank_mask:0xf// 000000009BB0: 0B1514FA FF015E1B
	v_mul_f32_dpp v139, v27, v139 row_newbcast:15 row_mask:0xf bank_mask:0xf// 000000009BB8: 0B1716FA FF015F1B
	v_cvt_f32_i32_e32 v140, v140                               // 000000009BC0: 7F180B8C
	v_cvt_f32_i32_e32 v141, v141                               // 000000009BC4: 7F1A0B8D
	v_cvt_f32_i32_e32 v142, v142                               // 000000009BC8: 7F1C0B8E
	v_cvt_f32_i32_e32 v143, v143                               // 000000009BCC: 7F1E0B8F
	v_mul_f32_dpp v140, v27, v140 row_newbcast:12 row_mask:0xf bank_mask:0xf// 000000009BD0: 0B1918FA FF015C1B
	v_mul_f32_dpp v141, v27, v141 row_newbcast:13 row_mask:0xf bank_mask:0xf// 000000009BD8: 0B1B1AFA FF015D1B
	v_mul_f32_dpp v142, v27, v142 row_newbcast:14 row_mask:0xf bank_mask:0xf// 000000009BE0: 0B1D1CFA FF015E1B
	v_mul_f32_dpp v143, v27, v143 row_newbcast:15 row_mask:0xf bank_mask:0xf// 000000009BE8: 0B1F1EFA FF015F1B
	v_cvt_f32_i32_e32 v144, v144                               // 000000009BF0: 7F200B90
	v_cvt_f32_i32_e32 v145, v145                               // 000000009BF4: 7F220B91
	v_cvt_f32_i32_e32 v146, v146                               // 000000009BF8: 7F240B92
	v_cvt_f32_i32_e32 v147, v147                               // 000000009BFC: 7F260B93
	v_mul_f32_dpp v144, v27, v144 row_newbcast:12 row_mask:0xf bank_mask:0xf// 000000009C00: 0B2120FA FF015C1B
	v_mul_f32_dpp v145, v27, v145 row_newbcast:13 row_mask:0xf bank_mask:0xf// 000000009C08: 0B2322FA FF015D1B
	v_mul_f32_dpp v146, v27, v146 row_newbcast:14 row_mask:0xf bank_mask:0xf// 000000009C10: 0B2524FA FF015E1B
	v_mul_f32_dpp v147, v27, v147 row_newbcast:15 row_mask:0xf bank_mask:0xf// 000000009C18: 0B2726FA FF015F1B
	v_mov_b32_e32 v4, v33                                      // 000000009C20: 7E080321
	v_mov_b32_e32 v5, v4                                       // 000000009C24: 7E0A0304
	v_pk_mul_f32 v[52:53], v[4:5], v[52:53]                    // 000000009C28: D3B14034 18026904
	v_pk_mul_f32 v[100:101], v[4:5], v[100:101]                // 000000009C30: D3B14064 1802C904
	v_pk_mul_f32 v[54:55], v[4:5], v[54:55]                    // 000000009C38: D3B14036 18026D04
	v_pk_mul_f32 v[102:103], v[4:5], v[102:103]                // 000000009C40: D3B14066 1802CD04
	v_pk_mul_f32 v[64:65], v[4:5], v[64:65]                    // 000000009C48: D3B14040 18028104
	v_pk_mul_f32 v[112:113], v[4:5], v[112:113]                // 000000009C50: D3B14070 1802E104
	v_pk_mul_f32 v[66:67], v[4:5], v[66:67]                    // 000000009C58: D3B14042 18028504
	v_pk_mul_f32 v[114:115], v[4:5], v[114:115]                // 000000009C60: D3B14072 1802E504
	v_pk_mul_f32 v[76:77], v[4:5], v[76:77]                    // 000000009C68: D3B1404C 18029904
	v_pk_mul_f32 v[124:125], v[4:5], v[124:125]                // 000000009C70: D3B1407C 1802F904
	v_pk_mul_f32 v[78:79], v[4:5], v[78:79]                    // 000000009C78: D3B1404E 18029D04
	v_pk_mul_f32 v[126:127], v[4:5], v[126:127]                // 000000009C80: D3B1407E 1802FD04
	v_pk_mul_f32 v[88:89], v[4:5], v[88:89]                    // 000000009C88: D3B14058 1802B104
	v_pk_mul_f32 v[136:137], v[4:5], v[136:137]                // 000000009C90: D3B14088 18031104
	v_pk_mul_f32 v[90:91], v[4:5], v[90:91]                    // 000000009C98: D3B1405A 1802B504
	v_pk_mul_f32 v[138:139], v[4:5], v[138:139]                // 000000009CA0: D3B1408A 18031504
	v_mov_b32_e32 v4, v34                                      // 000000009CA8: 7E080322
	v_mov_b32_e32 v5, v4                                       // 000000009CAC: 7E0A0304
	v_pk_mul_f32 v[56:57], v[4:5], v[56:57]                    // 000000009CB0: D3B14038 18027104
	v_pk_mul_f32 v[104:105], v[4:5], v[104:105]                // 000000009CB8: D3B14068 1802D104
	v_pk_mul_f32 v[58:59], v[4:5], v[58:59]                    // 000000009CC0: D3B1403A 18027504
	v_pk_mul_f32 v[106:107], v[4:5], v[106:107]                // 000000009CC8: D3B1406A 1802D504
	v_pk_mul_f32 v[68:69], v[4:5], v[68:69]                    // 000000009CD0: D3B14044 18028904
	v_pk_mul_f32 v[116:117], v[4:5], v[116:117]                // 000000009CD8: D3B14074 1802E904
	v_pk_mul_f32 v[70:71], v[4:5], v[70:71]                    // 000000009CE0: D3B14046 18028D04
	v_pk_mul_f32 v[118:119], v[4:5], v[118:119]                // 000000009CE8: D3B14076 1802ED04
	v_pk_mul_f32 v[80:81], v[4:5], v[80:81]                    // 000000009CF0: D3B14050 1802A104
	v_pk_mul_f32 v[128:129], v[4:5], v[128:129]                // 000000009CF8: D3B14080 18030104
	v_pk_mul_f32 v[82:83], v[4:5], v[82:83]                    // 000000009D00: D3B14052 1802A504
	v_pk_mul_f32 v[130:131], v[4:5], v[130:131]                // 000000009D08: D3B14082 18030504
	v_pk_mul_f32 v[92:93], v[4:5], v[92:93]                    // 000000009D10: D3B1405C 1802B904
	v_pk_mul_f32 v[140:141], v[4:5], v[140:141]                // 000000009D18: D3B1408C 18031904
	v_pk_mul_f32 v[94:95], v[4:5], v[94:95]                    // 000000009D20: D3B1405E 1802BD04
	v_pk_mul_f32 v[142:143], v[4:5], v[142:143]                // 000000009D28: D3B1408E 18031D04
	v_mov_b32_e32 v4, v35                                      // 000000009D30: 7E080323
	v_mov_b32_e32 v5, v4                                       // 000000009D34: 7E0A0304
	v_pk_mul_f32 v[60:61], v[4:5], v[60:61]                    // 000000009D38: D3B1403C 18027904
	v_pk_mul_f32 v[108:109], v[4:5], v[108:109]                // 000000009D40: D3B1406C 1802D904
	v_pk_mul_f32 v[62:63], v[4:5], v[62:63]                    // 000000009D48: D3B1403E 18027D04
	v_pk_mul_f32 v[110:111], v[4:5], v[110:111]                // 000000009D50: D3B1406E 1802DD04
	v_pk_mul_f32 v[72:73], v[4:5], v[72:73]                    // 000000009D58: D3B14048 18029104
	v_pk_mul_f32 v[120:121], v[4:5], v[120:121]                // 000000009D60: D3B14078 1802F104
	v_pk_mul_f32 v[74:75], v[4:5], v[74:75]                    // 000000009D68: D3B1404A 18029504
	v_pk_mul_f32 v[122:123], v[4:5], v[122:123]                // 000000009D70: D3B1407A 1802F504
	v_pk_mul_f32 v[84:85], v[4:5], v[84:85]                    // 000000009D78: D3B14054 1802A904
	v_pk_mul_f32 v[132:133], v[4:5], v[132:133]                // 000000009D80: D3B14084 18030904
	v_pk_mul_f32 v[86:87], v[4:5], v[86:87]                    // 000000009D88: D3B14056 1802AD04
	v_pk_mul_f32 v[134:135], v[4:5], v[134:135]                // 000000009D90: D3B14086 18030D04
	v_pk_mul_f32 v[96:97], v[4:5], v[96:97]                    // 000000009D98: D3B14060 1802C104
	v_pk_mul_f32 v[144:145], v[4:5], v[144:145]                // 000000009DA0: D3B14090 18032104
	v_pk_mul_f32 v[98:99], v[4:5], v[98:99]                    // 000000009DA8: D3B14062 1802C504
	v_pk_mul_f32 v[146:147], v[4:5], v[146:147]                // 000000009DB0: D3B14092 18032504
	s_cmp_eq_u32 s88, 0                                        // 000000009DB8: BF068058
	s_cbranch_scc0 label_2320                                  // 000000009DBC: BF84062D
	s_cmp_eq_u32 s89, 0                                        // 000000009DC0: BF068059
	s_cbranch_scc1 label_1EDA                                  // 000000009DC4: BF8501E5
	v_mov_b32_e32 v8, v1                                       // 000000009DC8: 7E100301
	v_mov_b32_e32 v9, v1                                       // 000000009DCC: 7E120301
	s_mov_b32 s60, s6                                          // 000000009DD0: BEBC0006
	s_mov_b32 s61, s6                                          // 000000009DD4: BEBD0006
	v_pk_mul_f32 v[4:5], v[52:53], v[52:53]                    // 000000009DD8: D3B14004 18026934
	v_pk_mul_f32 v[6:7], v[54:55], v[54:55]                    // 000000009DE0: D3B14006 18026D36
	v_pk_fma_f32 v[4:5], v[4:5], s[78:79], v[8:9]              // 000000009DE8: D3B04004 1C209D04
	v_pk_fma_f32 v[6:7], v[6:7], s[78:79], v[8:9]              // 000000009DF0: D3B04006 1C209D06
	v_pk_mul_f32 v[4:5], v[4:5], v[52:53]                      // 000000009DF8: D3B14004 18026904
	v_pk_mul_f32 v[6:7], v[6:7], v[54:55]                      // 000000009E00: D3B14006 18026D06
	v_pk_mul_f32 v[4:5], v[4:5], s[60:61]                      // 000000009E08: D3B14004 18007904
	v_pk_mul_f32 v[6:7], v[6:7], s[60:61]                      // 000000009E10: D3B14006 18007906
	v_exp_f32_e32 v4, v4                                       // 000000009E18: 7E084104
	v_exp_f32_e32 v5, v5                                       // 000000009E1C: 7E0A4105
	v_exp_f32_e32 v6, v6                                       // 000000009E20: 7E0C4106
	v_exp_f32_e32 v7, v7                                       // 000000009E24: 7E0E4107
	v_add_f32_e64 v4, v4, 1.0                                  // 000000009E28: D1010004 0001E504
	v_add_f32_e64 v5, v5, 1.0                                  // 000000009E30: D1010005 0001E505
	v_add_f32_e64 v6, v6, 1.0                                  // 000000009E38: D1010006 0001E506
	v_add_f32_e64 v7, v7, 1.0                                  // 000000009E40: D1010007 0001E507
	v_rcp_f32_e32 v4, v4                                       // 000000009E48: 7E084504
	v_rcp_f32_e32 v5, v5                                       // 000000009E4C: 7E0A4505
	v_rcp_f32_e32 v6, v6                                       // 000000009E50: 7E0C4506
	v_rcp_f32_e32 v7, v7                                       // 000000009E54: 7E0E4507
	v_mul_f32_e32 v52, v52, v4                                 // 000000009E58: 0A680934
	v_mul_f32_e32 v53, v53, v5                                 // 000000009E5C: 0A6A0B35
	v_mul_f32_e32 v54, v54, v6                                 // 000000009E60: 0A6C0D36
	v_mul_f32_e32 v55, v55, v7                                 // 000000009E64: 0A6E0F37
	v_mul_f32_e32 v52, v52, v100                               // 000000009E68: 0A68C934
	v_mul_f32_e32 v53, v53, v101                               // 000000009E6C: 0A6ACB35
	v_mul_f32_e32 v54, v54, v102                               // 000000009E70: 0A6CCD36
	v_mul_f32_e32 v55, v55, v103                               // 000000009E74: 0A6ECF37
	v_pk_mul_f32 v[4:5], v[56:57], v[56:57]                    // 000000009E78: D3B14004 18027138
	v_pk_mul_f32 v[6:7], v[58:59], v[58:59]                    // 000000009E80: D3B14006 1802753A
	v_pk_fma_f32 v[4:5], v[4:5], s[78:79], v[8:9]              // 000000009E88: D3B04004 1C209D04
	v_pk_fma_f32 v[6:7], v[6:7], s[78:79], v[8:9]              // 000000009E90: D3B04006 1C209D06
	v_pk_mul_f32 v[4:5], v[4:5], v[56:57]                      // 000000009E98: D3B14004 18027104
	v_pk_mul_f32 v[6:7], v[6:7], v[58:59]                      // 000000009EA0: D3B14006 18027506
	v_pk_mul_f32 v[4:5], v[4:5], s[60:61]                      // 000000009EA8: D3B14004 18007904
	v_pk_mul_f32 v[6:7], v[6:7], s[60:61]                      // 000000009EB0: D3B14006 18007906
	v_exp_f32_e32 v4, v4                                       // 000000009EB8: 7E084104
	v_exp_f32_e32 v5, v5                                       // 000000009EBC: 7E0A4105
	v_exp_f32_e32 v6, v6                                       // 000000009EC0: 7E0C4106
	v_exp_f32_e32 v7, v7                                       // 000000009EC4: 7E0E4107
	v_add_f32_e64 v4, v4, 1.0                                  // 000000009EC8: D1010004 0001E504
	v_add_f32_e64 v5, v5, 1.0                                  // 000000009ED0: D1010005 0001E505
	v_add_f32_e64 v6, v6, 1.0                                  // 000000009ED8: D1010006 0001E506
	v_add_f32_e64 v7, v7, 1.0                                  // 000000009EE0: D1010007 0001E507
	v_rcp_f32_e32 v4, v4                                       // 000000009EE8: 7E084504
	v_rcp_f32_e32 v5, v5                                       // 000000009EEC: 7E0A4505
	v_rcp_f32_e32 v6, v6                                       // 000000009EF0: 7E0C4506
	v_rcp_f32_e32 v7, v7                                       // 000000009EF4: 7E0E4507
	v_mul_f32_e32 v56, v56, v4                                 // 000000009EF8: 0A700938
	v_mul_f32_e32 v57, v57, v5                                 // 000000009EFC: 0A720B39
	v_mul_f32_e32 v58, v58, v6                                 // 000000009F00: 0A740D3A
	v_mul_f32_e32 v59, v59, v7                                 // 000000009F04: 0A760F3B
	v_mul_f32_e32 v56, v56, v104                               // 000000009F08: 0A70D138
	v_mul_f32_e32 v57, v57, v105                               // 000000009F0C: 0A72D339
	v_mul_f32_e32 v58, v58, v106                               // 000000009F10: 0A74D53A
	v_mul_f32_e32 v59, v59, v107                               // 000000009F14: 0A76D73B
	v_pk_mul_f32 v[4:5], v[60:61], v[60:61]                    // 000000009F18: D3B14004 1802793C
	v_pk_mul_f32 v[6:7], v[62:63], v[62:63]                    // 000000009F20: D3B14006 18027D3E
	v_pk_fma_f32 v[4:5], v[4:5], s[78:79], v[8:9]              // 000000009F28: D3B04004 1C209D04
	v_pk_fma_f32 v[6:7], v[6:7], s[78:79], v[8:9]              // 000000009F30: D3B04006 1C209D06
	v_pk_mul_f32 v[4:5], v[4:5], v[60:61]                      // 000000009F38: D3B14004 18027904
	v_pk_mul_f32 v[6:7], v[6:7], v[62:63]                      // 000000009F40: D3B14006 18027D06
	v_pk_mul_f32 v[4:5], v[4:5], s[60:61]                      // 000000009F48: D3B14004 18007904
	v_pk_mul_f32 v[6:7], v[6:7], s[60:61]                      // 000000009F50: D3B14006 18007906
	v_exp_f32_e32 v4, v4                                       // 000000009F58: 7E084104
	v_exp_f32_e32 v5, v5                                       // 000000009F5C: 7E0A4105
	v_exp_f32_e32 v6, v6                                       // 000000009F60: 7E0C4106
	v_exp_f32_e32 v7, v7                                       // 000000009F64: 7E0E4107
	v_add_f32_e64 v4, v4, 1.0                                  // 000000009F68: D1010004 0001E504
	v_add_f32_e64 v5, v5, 1.0                                  // 000000009F70: D1010005 0001E505
	v_add_f32_e64 v6, v6, 1.0                                  // 000000009F78: D1010006 0001E506
	v_add_f32_e64 v7, v7, 1.0                                  // 000000009F80: D1010007 0001E507
	v_rcp_f32_e32 v4, v4                                       // 000000009F88: 7E084504
	v_rcp_f32_e32 v5, v5                                       // 000000009F8C: 7E0A4505
	v_rcp_f32_e32 v6, v6                                       // 000000009F90: 7E0C4506
	v_rcp_f32_e32 v7, v7                                       // 000000009F94: 7E0E4507
	v_mul_f32_e32 v60, v60, v4                                 // 000000009F98: 0A78093C
	v_mul_f32_e32 v61, v61, v5                                 // 000000009F9C: 0A7A0B3D
	v_mul_f32_e32 v62, v62, v6                                 // 000000009FA0: 0A7C0D3E
	v_mul_f32_e32 v63, v63, v7                                 // 000000009FA4: 0A7E0F3F
	v_mul_f32_e32 v60, v60, v108                               // 000000009FA8: 0A78D93C
	v_mul_f32_e32 v61, v61, v109                               // 000000009FAC: 0A7ADB3D
	v_mul_f32_e32 v62, v62, v110                               // 000000009FB0: 0A7CDD3E
	v_mul_f32_e32 v63, v63, v111                               // 000000009FB4: 0A7EDF3F
	v_pk_mul_f32 v[4:5], v[64:65], v[64:65]                    // 000000009FB8: D3B14004 18028140
	v_pk_mul_f32 v[6:7], v[66:67], v[66:67]                    // 000000009FC0: D3B14006 18028542
	v_pk_fma_f32 v[4:5], v[4:5], s[78:79], v[8:9]              // 000000009FC8: D3B04004 1C209D04
	v_pk_fma_f32 v[6:7], v[6:7], s[78:79], v[8:9]              // 000000009FD0: D3B04006 1C209D06
	v_pk_mul_f32 v[4:5], v[4:5], v[64:65]                      // 000000009FD8: D3B14004 18028104
	v_pk_mul_f32 v[6:7], v[6:7], v[66:67]                      // 000000009FE0: D3B14006 18028506
	v_pk_mul_f32 v[4:5], v[4:5], s[60:61]                      // 000000009FE8: D3B14004 18007904
	v_pk_mul_f32 v[6:7], v[6:7], s[60:61]                      // 000000009FF0: D3B14006 18007906
	v_exp_f32_e32 v4, v4                                       // 000000009FF8: 7E084104
	v_exp_f32_e32 v5, v5                                       // 000000009FFC: 7E0A4105
	v_exp_f32_e32 v6, v6                                       // 00000000A000: 7E0C4106
	v_exp_f32_e32 v7, v7                                       // 00000000A004: 7E0E4107
	v_add_f32_e64 v4, v4, 1.0                                  // 00000000A008: D1010004 0001E504
	v_add_f32_e64 v5, v5, 1.0                                  // 00000000A010: D1010005 0001E505
	v_add_f32_e64 v6, v6, 1.0                                  // 00000000A018: D1010006 0001E506
	v_add_f32_e64 v7, v7, 1.0                                  // 00000000A020: D1010007 0001E507
	v_rcp_f32_e32 v4, v4                                       // 00000000A028: 7E084504
	v_rcp_f32_e32 v5, v5                                       // 00000000A02C: 7E0A4505
	v_rcp_f32_e32 v6, v6                                       // 00000000A030: 7E0C4506
	v_rcp_f32_e32 v7, v7                                       // 00000000A034: 7E0E4507
	v_mul_f32_e32 v64, v64, v4                                 // 00000000A038: 0A800940
	v_mul_f32_e32 v65, v65, v5                                 // 00000000A03C: 0A820B41
	v_mul_f32_e32 v66, v66, v6                                 // 00000000A040: 0A840D42
	v_mul_f32_e32 v67, v67, v7                                 // 00000000A044: 0A860F43
	v_mul_f32_e32 v64, v64, v112                               // 00000000A048: 0A80E140
	v_mul_f32_e32 v65, v65, v113                               // 00000000A04C: 0A82E341
	v_mul_f32_e32 v66, v66, v114                               // 00000000A050: 0A84E542
	v_mul_f32_e32 v67, v67, v115                               // 00000000A054: 0A86E743
	v_pk_mul_f32 v[4:5], v[68:69], v[68:69]                    // 00000000A058: D3B14004 18028944
	v_pk_mul_f32 v[6:7], v[70:71], v[70:71]                    // 00000000A060: D3B14006 18028D46
	v_pk_fma_f32 v[4:5], v[4:5], s[78:79], v[8:9]              // 00000000A068: D3B04004 1C209D04
	v_pk_fma_f32 v[6:7], v[6:7], s[78:79], v[8:9]              // 00000000A070: D3B04006 1C209D06
	v_pk_mul_f32 v[4:5], v[4:5], v[68:69]                      // 00000000A078: D3B14004 18028904
	v_pk_mul_f32 v[6:7], v[6:7], v[70:71]                      // 00000000A080: D3B14006 18028D06
	v_pk_mul_f32 v[4:5], v[4:5], s[60:61]                      // 00000000A088: D3B14004 18007904
	v_pk_mul_f32 v[6:7], v[6:7], s[60:61]                      // 00000000A090: D3B14006 18007906
	v_exp_f32_e32 v4, v4                                       // 00000000A098: 7E084104
	v_exp_f32_e32 v5, v5                                       // 00000000A09C: 7E0A4105
	v_exp_f32_e32 v6, v6                                       // 00000000A0A0: 7E0C4106
	v_exp_f32_e32 v7, v7                                       // 00000000A0A4: 7E0E4107
	v_add_f32_e64 v4, v4, 1.0                                  // 00000000A0A8: D1010004 0001E504
	v_add_f32_e64 v5, v5, 1.0                                  // 00000000A0B0: D1010005 0001E505
	v_add_f32_e64 v6, v6, 1.0                                  // 00000000A0B8: D1010006 0001E506
	v_add_f32_e64 v7, v7, 1.0                                  // 00000000A0C0: D1010007 0001E507
	v_rcp_f32_e32 v4, v4                                       // 00000000A0C8: 7E084504
	v_rcp_f32_e32 v5, v5                                       // 00000000A0CC: 7E0A4505
	v_rcp_f32_e32 v6, v6                                       // 00000000A0D0: 7E0C4506
	v_rcp_f32_e32 v7, v7                                       // 00000000A0D4: 7E0E4507
	v_mul_f32_e32 v68, v68, v4                                 // 00000000A0D8: 0A880944
	v_mul_f32_e32 v69, v69, v5                                 // 00000000A0DC: 0A8A0B45
	v_mul_f32_e32 v70, v70, v6                                 // 00000000A0E0: 0A8C0D46
	v_mul_f32_e32 v71, v71, v7                                 // 00000000A0E4: 0A8E0F47
	v_mul_f32_e32 v68, v68, v116                               // 00000000A0E8: 0A88E944
	v_mul_f32_e32 v69, v69, v117                               // 00000000A0EC: 0A8AEB45
	v_mul_f32_e32 v70, v70, v118                               // 00000000A0F0: 0A8CED46
	v_mul_f32_e32 v71, v71, v119                               // 00000000A0F4: 0A8EEF47
	v_pk_mul_f32 v[4:5], v[72:73], v[72:73]                    // 00000000A0F8: D3B14004 18029148
	v_pk_mul_f32 v[6:7], v[74:75], v[74:75]                    // 00000000A100: D3B14006 1802954A
	v_pk_fma_f32 v[4:5], v[4:5], s[78:79], v[8:9]              // 00000000A108: D3B04004 1C209D04
	v_pk_fma_f32 v[6:7], v[6:7], s[78:79], v[8:9]              // 00000000A110: D3B04006 1C209D06
	v_pk_mul_f32 v[4:5], v[4:5], v[72:73]                      // 00000000A118: D3B14004 18029104
	v_pk_mul_f32 v[6:7], v[6:7], v[74:75]                      // 00000000A120: D3B14006 18029506
	v_pk_mul_f32 v[4:5], v[4:5], s[60:61]                      // 00000000A128: D3B14004 18007904
	v_pk_mul_f32 v[6:7], v[6:7], s[60:61]                      // 00000000A130: D3B14006 18007906
	v_exp_f32_e32 v4, v4                                       // 00000000A138: 7E084104
	v_exp_f32_e32 v5, v5                                       // 00000000A13C: 7E0A4105
	v_exp_f32_e32 v6, v6                                       // 00000000A140: 7E0C4106
	v_exp_f32_e32 v7, v7                                       // 00000000A144: 7E0E4107
	v_add_f32_e64 v4, v4, 1.0                                  // 00000000A148: D1010004 0001E504
	v_add_f32_e64 v5, v5, 1.0                                  // 00000000A150: D1010005 0001E505
	v_add_f32_e64 v6, v6, 1.0                                  // 00000000A158: D1010006 0001E506
	v_add_f32_e64 v7, v7, 1.0                                  // 00000000A160: D1010007 0001E507
	v_rcp_f32_e32 v4, v4                                       // 00000000A168: 7E084504
	v_rcp_f32_e32 v5, v5                                       // 00000000A16C: 7E0A4505
	v_rcp_f32_e32 v6, v6                                       // 00000000A170: 7E0C4506
	v_rcp_f32_e32 v7, v7                                       // 00000000A174: 7E0E4507
	v_mul_f32_e32 v72, v72, v4                                 // 00000000A178: 0A900948
	v_mul_f32_e32 v73, v73, v5                                 // 00000000A17C: 0A920B49
	v_mul_f32_e32 v74, v74, v6                                 // 00000000A180: 0A940D4A
	v_mul_f32_e32 v75, v75, v7                                 // 00000000A184: 0A960F4B
	v_mul_f32_e32 v72, v72, v120                               // 00000000A188: 0A90F148
	v_mul_f32_e32 v73, v73, v121                               // 00000000A18C: 0A92F349
	v_mul_f32_e32 v74, v74, v122                               // 00000000A190: 0A94F54A
	v_mul_f32_e32 v75, v75, v123                               // 00000000A194: 0A96F74B
	v_pk_mul_f32 v[4:5], v[76:77], v[76:77]                    // 00000000A198: D3B14004 1802994C
	v_pk_mul_f32 v[6:7], v[78:79], v[78:79]                    // 00000000A1A0: D3B14006 18029D4E
	v_pk_fma_f32 v[4:5], v[4:5], s[78:79], v[8:9]              // 00000000A1A8: D3B04004 1C209D04
	v_pk_fma_f32 v[6:7], v[6:7], s[78:79], v[8:9]              // 00000000A1B0: D3B04006 1C209D06
	v_pk_mul_f32 v[4:5], v[4:5], v[76:77]                      // 00000000A1B8: D3B14004 18029904
	v_pk_mul_f32 v[6:7], v[6:7], v[78:79]                      // 00000000A1C0: D3B14006 18029D06
	v_pk_mul_f32 v[4:5], v[4:5], s[60:61]                      // 00000000A1C8: D3B14004 18007904
	v_pk_mul_f32 v[6:7], v[6:7], s[60:61]                      // 00000000A1D0: D3B14006 18007906
	v_exp_f32_e32 v4, v4                                       // 00000000A1D8: 7E084104
	v_exp_f32_e32 v5, v5                                       // 00000000A1DC: 7E0A4105
	v_exp_f32_e32 v6, v6                                       // 00000000A1E0: 7E0C4106
	v_exp_f32_e32 v7, v7                                       // 00000000A1E4: 7E0E4107
	v_add_f32_e64 v4, v4, 1.0                                  // 00000000A1E8: D1010004 0001E504
	v_add_f32_e64 v5, v5, 1.0                                  // 00000000A1F0: D1010005 0001E505
	v_add_f32_e64 v6, v6, 1.0                                  // 00000000A1F8: D1010006 0001E506
	v_add_f32_e64 v7, v7, 1.0                                  // 00000000A200: D1010007 0001E507
	v_rcp_f32_e32 v4, v4                                       // 00000000A208: 7E084504
	v_rcp_f32_e32 v5, v5                                       // 00000000A20C: 7E0A4505
	v_rcp_f32_e32 v6, v6                                       // 00000000A210: 7E0C4506
	v_rcp_f32_e32 v7, v7                                       // 00000000A214: 7E0E4507
	v_mul_f32_e32 v76, v76, v4                                 // 00000000A218: 0A98094C
	v_mul_f32_e32 v77, v77, v5                                 // 00000000A21C: 0A9A0B4D
	v_mul_f32_e32 v78, v78, v6                                 // 00000000A220: 0A9C0D4E
	v_mul_f32_e32 v79, v79, v7                                 // 00000000A224: 0A9E0F4F
	v_mul_f32_e32 v76, v76, v124                               // 00000000A228: 0A98F94C
	v_mul_f32_e32 v77, v77, v125                               // 00000000A22C: 0A9AFB4D
	v_mul_f32_e32 v78, v78, v126                               // 00000000A230: 0A9CFD4E
	v_mul_f32_e32 v79, v79, v127                               // 00000000A234: 0A9EFF4F
	v_pk_mul_f32 v[4:5], v[80:81], v[80:81]                    // 00000000A238: D3B14004 1802A150
	v_pk_mul_f32 v[6:7], v[82:83], v[82:83]                    // 00000000A240: D3B14006 1802A552
	v_pk_fma_f32 v[4:5], v[4:5], s[78:79], v[8:9]              // 00000000A248: D3B04004 1C209D04
	v_pk_fma_f32 v[6:7], v[6:7], s[78:79], v[8:9]              // 00000000A250: D3B04006 1C209D06
	v_pk_mul_f32 v[4:5], v[4:5], v[80:81]                      // 00000000A258: D3B14004 1802A104
	v_pk_mul_f32 v[6:7], v[6:7], v[82:83]                      // 00000000A260: D3B14006 1802A506
	v_pk_mul_f32 v[4:5], v[4:5], s[60:61]                      // 00000000A268: D3B14004 18007904
	v_pk_mul_f32 v[6:7], v[6:7], s[60:61]                      // 00000000A270: D3B14006 18007906
	v_exp_f32_e32 v4, v4                                       // 00000000A278: 7E084104
	v_exp_f32_e32 v5, v5                                       // 00000000A27C: 7E0A4105
	v_exp_f32_e32 v6, v6                                       // 00000000A280: 7E0C4106
	v_exp_f32_e32 v7, v7                                       // 00000000A284: 7E0E4107
	v_add_f32_e64 v4, v4, 1.0                                  // 00000000A288: D1010004 0001E504
	v_add_f32_e64 v5, v5, 1.0                                  // 00000000A290: D1010005 0001E505
	v_add_f32_e64 v6, v6, 1.0                                  // 00000000A298: D1010006 0001E506
	v_add_f32_e64 v7, v7, 1.0                                  // 00000000A2A0: D1010007 0001E507
	v_rcp_f32_e32 v4, v4                                       // 00000000A2A8: 7E084504
	v_rcp_f32_e32 v5, v5                                       // 00000000A2AC: 7E0A4505
	v_rcp_f32_e32 v6, v6                                       // 00000000A2B0: 7E0C4506
	v_rcp_f32_e32 v7, v7                                       // 00000000A2B4: 7E0E4507
	v_mul_f32_e32 v80, v80, v4                                 // 00000000A2B8: 0AA00950
	v_mul_f32_e32 v81, v81, v5                                 // 00000000A2BC: 0AA20B51
	v_mul_f32_e32 v82, v82, v6                                 // 00000000A2C0: 0AA40D52
	v_mul_f32_e32 v83, v83, v7                                 // 00000000A2C4: 0AA60F53
	v_mul_f32_e32 v80, v80, v128                               // 00000000A2C8: 0AA10150
	v_mul_f32_e32 v81, v81, v129                               // 00000000A2CC: 0AA30351
	v_mul_f32_e32 v82, v82, v130                               // 00000000A2D0: 0AA50552
	v_mul_f32_e32 v83, v83, v131                               // 00000000A2D4: 0AA70753
	v_pk_mul_f32 v[4:5], v[84:85], v[84:85]                    // 00000000A2D8: D3B14004 1802A954
	v_pk_mul_f32 v[6:7], v[86:87], v[86:87]                    // 00000000A2E0: D3B14006 1802AD56
	v_pk_fma_f32 v[4:5], v[4:5], s[78:79], v[8:9]              // 00000000A2E8: D3B04004 1C209D04
	v_pk_fma_f32 v[6:7], v[6:7], s[78:79], v[8:9]              // 00000000A2F0: D3B04006 1C209D06
	v_pk_mul_f32 v[4:5], v[4:5], v[84:85]                      // 00000000A2F8: D3B14004 1802A904
	v_pk_mul_f32 v[6:7], v[6:7], v[86:87]                      // 00000000A300: D3B14006 1802AD06
	v_pk_mul_f32 v[4:5], v[4:5], s[60:61]                      // 00000000A308: D3B14004 18007904
	v_pk_mul_f32 v[6:7], v[6:7], s[60:61]                      // 00000000A310: D3B14006 18007906
	v_exp_f32_e32 v4, v4                                       // 00000000A318: 7E084104
	v_exp_f32_e32 v5, v5                                       // 00000000A31C: 7E0A4105
	v_exp_f32_e32 v6, v6                                       // 00000000A320: 7E0C4106
	v_exp_f32_e32 v7, v7                                       // 00000000A324: 7E0E4107
	v_add_f32_e64 v4, v4, 1.0                                  // 00000000A328: D1010004 0001E504
	v_add_f32_e64 v5, v5, 1.0                                  // 00000000A330: D1010005 0001E505
	v_add_f32_e64 v6, v6, 1.0                                  // 00000000A338: D1010006 0001E506
	v_add_f32_e64 v7, v7, 1.0                                  // 00000000A340: D1010007 0001E507
	v_rcp_f32_e32 v4, v4                                       // 00000000A348: 7E084504
	v_rcp_f32_e32 v5, v5                                       // 00000000A34C: 7E0A4505
	v_rcp_f32_e32 v6, v6                                       // 00000000A350: 7E0C4506
	v_rcp_f32_e32 v7, v7                                       // 00000000A354: 7E0E4507
	v_mul_f32_e32 v84, v84, v4                                 // 00000000A358: 0AA80954
	v_mul_f32_e32 v85, v85, v5                                 // 00000000A35C: 0AAA0B55
	v_mul_f32_e32 v86, v86, v6                                 // 00000000A360: 0AAC0D56
	v_mul_f32_e32 v87, v87, v7                                 // 00000000A364: 0AAE0F57
	v_mul_f32_e32 v84, v84, v132                               // 00000000A368: 0AA90954
	v_mul_f32_e32 v85, v85, v133                               // 00000000A36C: 0AAB0B55
	v_mul_f32_e32 v86, v86, v134                               // 00000000A370: 0AAD0D56
	v_mul_f32_e32 v87, v87, v135                               // 00000000A374: 0AAF0F57
	v_pk_mul_f32 v[4:5], v[88:89], v[88:89]                    // 00000000A378: D3B14004 1802B158
	v_pk_mul_f32 v[6:7], v[90:91], v[90:91]                    // 00000000A380: D3B14006 1802B55A
	v_pk_fma_f32 v[4:5], v[4:5], s[78:79], v[8:9]              // 00000000A388: D3B04004 1C209D04
	v_pk_fma_f32 v[6:7], v[6:7], s[78:79], v[8:9]              // 00000000A390: D3B04006 1C209D06
	v_pk_mul_f32 v[4:5], v[4:5], v[88:89]                      // 00000000A398: D3B14004 1802B104
	v_pk_mul_f32 v[6:7], v[6:7], v[90:91]                      // 00000000A3A0: D3B14006 1802B506
	v_pk_mul_f32 v[4:5], v[4:5], s[60:61]                      // 00000000A3A8: D3B14004 18007904
	v_pk_mul_f32 v[6:7], v[6:7], s[60:61]                      // 00000000A3B0: D3B14006 18007906
	v_exp_f32_e32 v4, v4                                       // 00000000A3B8: 7E084104
	v_exp_f32_e32 v5, v5                                       // 00000000A3BC: 7E0A4105
	v_exp_f32_e32 v6, v6                                       // 00000000A3C0: 7E0C4106
	v_exp_f32_e32 v7, v7                                       // 00000000A3C4: 7E0E4107
	v_add_f32_e64 v4, v4, 1.0                                  // 00000000A3C8: D1010004 0001E504
	v_add_f32_e64 v5, v5, 1.0                                  // 00000000A3D0: D1010005 0001E505
	v_add_f32_e64 v6, v6, 1.0                                  // 00000000A3D8: D1010006 0001E506
	v_add_f32_e64 v7, v7, 1.0                                  // 00000000A3E0: D1010007 0001E507
	v_rcp_f32_e32 v4, v4                                       // 00000000A3E8: 7E084504
	v_rcp_f32_e32 v5, v5                                       // 00000000A3EC: 7E0A4505
	v_rcp_f32_e32 v6, v6                                       // 00000000A3F0: 7E0C4506
	v_rcp_f32_e32 v7, v7                                       // 00000000A3F4: 7E0E4507
	v_mul_f32_e32 v88, v88, v4                                 // 00000000A3F8: 0AB00958
	v_mul_f32_e32 v89, v89, v5                                 // 00000000A3FC: 0AB20B59
	v_mul_f32_e32 v90, v90, v6                                 // 00000000A400: 0AB40D5A
	v_mul_f32_e32 v91, v91, v7                                 // 00000000A404: 0AB60F5B
	v_mul_f32_e32 v88, v88, v136                               // 00000000A408: 0AB11158
	v_mul_f32_e32 v89, v89, v137                               // 00000000A40C: 0AB31359
	v_mul_f32_e32 v90, v90, v138                               // 00000000A410: 0AB5155A
	v_mul_f32_e32 v91, v91, v139                               // 00000000A414: 0AB7175B
	v_pk_mul_f32 v[4:5], v[92:93], v[92:93]                    // 00000000A418: D3B14004 1802B95C
	v_pk_mul_f32 v[6:7], v[94:95], v[94:95]                    // 00000000A420: D3B14006 1802BD5E
	v_pk_fma_f32 v[4:5], v[4:5], s[78:79], v[8:9]              // 00000000A428: D3B04004 1C209D04
	v_pk_fma_f32 v[6:7], v[6:7], s[78:79], v[8:9]              // 00000000A430: D3B04006 1C209D06
	v_pk_mul_f32 v[4:5], v[4:5], v[92:93]                      // 00000000A438: D3B14004 1802B904
	v_pk_mul_f32 v[6:7], v[6:7], v[94:95]                      // 00000000A440: D3B14006 1802BD06
	v_pk_mul_f32 v[4:5], v[4:5], s[60:61]                      // 00000000A448: D3B14004 18007904
	v_pk_mul_f32 v[6:7], v[6:7], s[60:61]                      // 00000000A450: D3B14006 18007906
	v_exp_f32_e32 v4, v4                                       // 00000000A458: 7E084104
	v_exp_f32_e32 v5, v5                                       // 00000000A45C: 7E0A4105
	v_exp_f32_e32 v6, v6                                       // 00000000A460: 7E0C4106
	v_exp_f32_e32 v7, v7                                       // 00000000A464: 7E0E4107
	v_add_f32_e64 v4, v4, 1.0                                  // 00000000A468: D1010004 0001E504
	v_add_f32_e64 v5, v5, 1.0                                  // 00000000A470: D1010005 0001E505
	v_add_f32_e64 v6, v6, 1.0                                  // 00000000A478: D1010006 0001E506
	v_add_f32_e64 v7, v7, 1.0                                  // 00000000A480: D1010007 0001E507
	v_rcp_f32_e32 v4, v4                                       // 00000000A488: 7E084504
	v_rcp_f32_e32 v5, v5                                       // 00000000A48C: 7E0A4505
	v_rcp_f32_e32 v6, v6                                       // 00000000A490: 7E0C4506
	v_rcp_f32_e32 v7, v7                                       // 00000000A494: 7E0E4507
	v_mul_f32_e32 v92, v92, v4                                 // 00000000A498: 0AB8095C
	v_mul_f32_e32 v93, v93, v5                                 // 00000000A49C: 0ABA0B5D
	v_mul_f32_e32 v94, v94, v6                                 // 00000000A4A0: 0ABC0D5E
	v_mul_f32_e32 v95, v95, v7                                 // 00000000A4A4: 0ABE0F5F
	v_mul_f32_e32 v92, v92, v140                               // 00000000A4A8: 0AB9195C
	v_mul_f32_e32 v93, v93, v141                               // 00000000A4AC: 0ABB1B5D
	v_mul_f32_e32 v94, v94, v142                               // 00000000A4B0: 0ABD1D5E
	v_mul_f32_e32 v95, v95, v143                               // 00000000A4B4: 0ABF1F5F
	v_pk_mul_f32 v[4:5], v[96:97], v[96:97]                    // 00000000A4B8: D3B14004 1802C160
	v_pk_mul_f32 v[6:7], v[98:99], v[98:99]                    // 00000000A4C0: D3B14006 1802C562
	v_pk_fma_f32 v[4:5], v[4:5], s[78:79], v[8:9]              // 00000000A4C8: D3B04004 1C209D04
	v_pk_fma_f32 v[6:7], v[6:7], s[78:79], v[8:9]              // 00000000A4D0: D3B04006 1C209D06
	v_pk_mul_f32 v[4:5], v[4:5], v[96:97]                      // 00000000A4D8: D3B14004 1802C104
	v_pk_mul_f32 v[6:7], v[6:7], v[98:99]                      // 00000000A4E0: D3B14006 1802C506
	v_pk_mul_f32 v[4:5], v[4:5], s[60:61]                      // 00000000A4E8: D3B14004 18007904
	v_pk_mul_f32 v[6:7], v[6:7], s[60:61]                      // 00000000A4F0: D3B14006 18007906
	v_exp_f32_e32 v4, v4                                       // 00000000A4F8: 7E084104
	v_exp_f32_e32 v5, v5                                       // 00000000A4FC: 7E0A4105
	v_exp_f32_e32 v6, v6                                       // 00000000A500: 7E0C4106
	v_exp_f32_e32 v7, v7                                       // 00000000A504: 7E0E4107
	v_add_f32_e64 v4, v4, 1.0                                  // 00000000A508: D1010004 0001E504
	v_add_f32_e64 v5, v5, 1.0                                  // 00000000A510: D1010005 0001E505
	v_add_f32_e64 v6, v6, 1.0                                  // 00000000A518: D1010006 0001E506
	v_add_f32_e64 v7, v7, 1.0                                  // 00000000A520: D1010007 0001E507
	v_rcp_f32_e32 v4, v4                                       // 00000000A528: 7E084504
	v_rcp_f32_e32 v5, v5                                       // 00000000A52C: 7E0A4505
	v_rcp_f32_e32 v6, v6                                       // 00000000A530: 7E0C4506
	v_rcp_f32_e32 v7, v7                                       // 00000000A534: 7E0E4507
	v_mul_f32_e32 v96, v96, v4                                 // 00000000A538: 0AC00960
	v_mul_f32_e32 v97, v97, v5                                 // 00000000A53C: 0AC20B61
	v_mul_f32_e32 v98, v98, v6                                 // 00000000A540: 0AC40D62
	v_mul_f32_e32 v99, v99, v7                                 // 00000000A544: 0AC60F63
	v_mul_f32_e32 v96, v96, v144                               // 00000000A548: 0AC12160
	v_mul_f32_e32 v97, v97, v145                               // 00000000A54C: 0AC32361
	v_mul_f32_e32 v98, v98, v146                               // 00000000A550: 0AC52562
	v_mul_f32_e32 v99, v99, v147                               // 00000000A554: 0AC72763
	s_branch label_205A                                        // 00000000A558: BF820180

000000000000a55c <label_1EDA>:
	v_mul_f32_e64 v4, -v52, s6                                 // 00000000A55C: D1050004 20000D34
	v_mul_f32_e64 v5, -v53, s6                                 // 00000000A564: D1050005 20000D35
	v_mul_f32_e64 v6, -v54, s6                                 // 00000000A56C: D1050006 20000D36
	v_mul_f32_e64 v7, -v55, s6                                 // 00000000A574: D1050007 20000D37
	v_exp_f32_e32 v4, v4                                       // 00000000A57C: 7E084104
	v_exp_f32_e32 v5, v5                                       // 00000000A580: 7E0A4105
	v_exp_f32_e32 v6, v6                                       // 00000000A584: 7E0C4106
	v_exp_f32_e32 v7, v7                                       // 00000000A588: 7E0E4107
	v_add_f32_e64 v4, v4, 1.0                                  // 00000000A58C: D1010004 0001E504
	v_add_f32_e64 v5, v5, 1.0                                  // 00000000A594: D1010005 0001E505
	v_add_f32_e64 v6, v6, 1.0                                  // 00000000A59C: D1010006 0001E506
	v_add_f32_e64 v7, v7, 1.0                                  // 00000000A5A4: D1010007 0001E507
	v_rcp_f32_e32 v4, v4                                       // 00000000A5AC: 7E084504
	v_rcp_f32_e32 v5, v5                                       // 00000000A5B0: 7E0A4505
	v_rcp_f32_e32 v6, v6                                       // 00000000A5B4: 7E0C4506
	v_rcp_f32_e32 v7, v7                                       // 00000000A5B8: 7E0E4507
	v_mul_f32_e32 v52, v52, v4                                 // 00000000A5BC: 0A680934
	v_mul_f32_e32 v53, v53, v5                                 // 00000000A5C0: 0A6A0B35
	v_mul_f32_e32 v54, v54, v6                                 // 00000000A5C4: 0A6C0D36
	v_mul_f32_e32 v55, v55, v7                                 // 00000000A5C8: 0A6E0F37
	v_mul_f32_e32 v52, v52, v100                               // 00000000A5CC: 0A68C934
	v_mul_f32_e32 v53, v53, v101                               // 00000000A5D0: 0A6ACB35
	v_mul_f32_e32 v54, v54, v102                               // 00000000A5D4: 0A6CCD36
	v_mul_f32_e32 v55, v55, v103                               // 00000000A5D8: 0A6ECF37
	v_mul_f32_e64 v4, -v56, s6                                 // 00000000A5DC: D1050004 20000D38
	v_mul_f32_e64 v5, -v57, s6                                 // 00000000A5E4: D1050005 20000D39
	v_mul_f32_e64 v6, -v58, s6                                 // 00000000A5EC: D1050006 20000D3A
	v_mul_f32_e64 v7, -v59, s6                                 // 00000000A5F4: D1050007 20000D3B
	v_exp_f32_e32 v4, v4                                       // 00000000A5FC: 7E084104
	v_exp_f32_e32 v5, v5                                       // 00000000A600: 7E0A4105
	v_exp_f32_e32 v6, v6                                       // 00000000A604: 7E0C4106
	v_exp_f32_e32 v7, v7                                       // 00000000A608: 7E0E4107
	v_add_f32_e64 v4, v4, 1.0                                  // 00000000A60C: D1010004 0001E504
	v_add_f32_e64 v5, v5, 1.0                                  // 00000000A614: D1010005 0001E505
	v_add_f32_e64 v6, v6, 1.0                                  // 00000000A61C: D1010006 0001E506
	v_add_f32_e64 v7, v7, 1.0                                  // 00000000A624: D1010007 0001E507
	v_rcp_f32_e32 v4, v4                                       // 00000000A62C: 7E084504
	v_rcp_f32_e32 v5, v5                                       // 00000000A630: 7E0A4505
	v_rcp_f32_e32 v6, v6                                       // 00000000A634: 7E0C4506
	v_rcp_f32_e32 v7, v7                                       // 00000000A638: 7E0E4507
	v_mul_f32_e32 v56, v56, v4                                 // 00000000A63C: 0A700938
	v_mul_f32_e32 v57, v57, v5                                 // 00000000A640: 0A720B39
	v_mul_f32_e32 v58, v58, v6                                 // 00000000A644: 0A740D3A
	v_mul_f32_e32 v59, v59, v7                                 // 00000000A648: 0A760F3B
	v_mul_f32_e32 v56, v56, v104                               // 00000000A64C: 0A70D138
	v_mul_f32_e32 v57, v57, v105                               // 00000000A650: 0A72D339
	v_mul_f32_e32 v58, v58, v106                               // 00000000A654: 0A74D53A
	v_mul_f32_e32 v59, v59, v107                               // 00000000A658: 0A76D73B
	v_mul_f32_e64 v4, -v60, s6                                 // 00000000A65C: D1050004 20000D3C
	v_mul_f32_e64 v5, -v61, s6                                 // 00000000A664: D1050005 20000D3D
	v_mul_f32_e64 v6, -v62, s6                                 // 00000000A66C: D1050006 20000D3E
	v_mul_f32_e64 v7, -v63, s6                                 // 00000000A674: D1050007 20000D3F
	v_exp_f32_e32 v4, v4                                       // 00000000A67C: 7E084104
	v_exp_f32_e32 v5, v5                                       // 00000000A680: 7E0A4105
	v_exp_f32_e32 v6, v6                                       // 00000000A684: 7E0C4106
	v_exp_f32_e32 v7, v7                                       // 00000000A688: 7E0E4107
	v_add_f32_e64 v4, v4, 1.0                                  // 00000000A68C: D1010004 0001E504
	v_add_f32_e64 v5, v5, 1.0                                  // 00000000A694: D1010005 0001E505
	v_add_f32_e64 v6, v6, 1.0                                  // 00000000A69C: D1010006 0001E506
	v_add_f32_e64 v7, v7, 1.0                                  // 00000000A6A4: D1010007 0001E507
	v_rcp_f32_e32 v4, v4                                       // 00000000A6AC: 7E084504
	v_rcp_f32_e32 v5, v5                                       // 00000000A6B0: 7E0A4505
	v_rcp_f32_e32 v6, v6                                       // 00000000A6B4: 7E0C4506
	v_rcp_f32_e32 v7, v7                                       // 00000000A6B8: 7E0E4507
	v_mul_f32_e32 v60, v60, v4                                 // 00000000A6BC: 0A78093C
	v_mul_f32_e32 v61, v61, v5                                 // 00000000A6C0: 0A7A0B3D
	v_mul_f32_e32 v62, v62, v6                                 // 00000000A6C4: 0A7C0D3E
	v_mul_f32_e32 v63, v63, v7                                 // 00000000A6C8: 0A7E0F3F
	v_mul_f32_e32 v60, v60, v108                               // 00000000A6CC: 0A78D93C
	v_mul_f32_e32 v61, v61, v109                               // 00000000A6D0: 0A7ADB3D
	v_mul_f32_e32 v62, v62, v110                               // 00000000A6D4: 0A7CDD3E
	v_mul_f32_e32 v63, v63, v111                               // 00000000A6D8: 0A7EDF3F
	v_mul_f32_e64 v4, -v64, s6                                 // 00000000A6DC: D1050004 20000D40
	v_mul_f32_e64 v5, -v65, s6                                 // 00000000A6E4: D1050005 20000D41
	v_mul_f32_e64 v6, -v66, s6                                 // 00000000A6EC: D1050006 20000D42
	v_mul_f32_e64 v7, -v67, s6                                 // 00000000A6F4: D1050007 20000D43
	v_exp_f32_e32 v4, v4                                       // 00000000A6FC: 7E084104
	v_exp_f32_e32 v5, v5                                       // 00000000A700: 7E0A4105
	v_exp_f32_e32 v6, v6                                       // 00000000A704: 7E0C4106
	v_exp_f32_e32 v7, v7                                       // 00000000A708: 7E0E4107
	v_add_f32_e64 v4, v4, 1.0                                  // 00000000A70C: D1010004 0001E504
	v_add_f32_e64 v5, v5, 1.0                                  // 00000000A714: D1010005 0001E505
	v_add_f32_e64 v6, v6, 1.0                                  // 00000000A71C: D1010006 0001E506
	v_add_f32_e64 v7, v7, 1.0                                  // 00000000A724: D1010007 0001E507
	v_rcp_f32_e32 v4, v4                                       // 00000000A72C: 7E084504
	v_rcp_f32_e32 v5, v5                                       // 00000000A730: 7E0A4505
	v_rcp_f32_e32 v6, v6                                       // 00000000A734: 7E0C4506
	v_rcp_f32_e32 v7, v7                                       // 00000000A738: 7E0E4507
	v_mul_f32_e32 v64, v64, v4                                 // 00000000A73C: 0A800940
	v_mul_f32_e32 v65, v65, v5                                 // 00000000A740: 0A820B41
	v_mul_f32_e32 v66, v66, v6                                 // 00000000A744: 0A840D42
	v_mul_f32_e32 v67, v67, v7                                 // 00000000A748: 0A860F43
	v_mul_f32_e32 v64, v64, v112                               // 00000000A74C: 0A80E140
	v_mul_f32_e32 v65, v65, v113                               // 00000000A750: 0A82E341
	v_mul_f32_e32 v66, v66, v114                               // 00000000A754: 0A84E542
	v_mul_f32_e32 v67, v67, v115                               // 00000000A758: 0A86E743
	v_mul_f32_e64 v4, -v68, s6                                 // 00000000A75C: D1050004 20000D44
	v_mul_f32_e64 v5, -v69, s6                                 // 00000000A764: D1050005 20000D45
	v_mul_f32_e64 v6, -v70, s6                                 // 00000000A76C: D1050006 20000D46
	v_mul_f32_e64 v7, -v71, s6                                 // 00000000A774: D1050007 20000D47
	v_exp_f32_e32 v4, v4                                       // 00000000A77C: 7E084104
	v_exp_f32_e32 v5, v5                                       // 00000000A780: 7E0A4105
	v_exp_f32_e32 v6, v6                                       // 00000000A784: 7E0C4106
	v_exp_f32_e32 v7, v7                                       // 00000000A788: 7E0E4107
	v_add_f32_e64 v4, v4, 1.0                                  // 00000000A78C: D1010004 0001E504
	v_add_f32_e64 v5, v5, 1.0                                  // 00000000A794: D1010005 0001E505
	v_add_f32_e64 v6, v6, 1.0                                  // 00000000A79C: D1010006 0001E506
	v_add_f32_e64 v7, v7, 1.0                                  // 00000000A7A4: D1010007 0001E507
	v_rcp_f32_e32 v4, v4                                       // 00000000A7AC: 7E084504
	v_rcp_f32_e32 v5, v5                                       // 00000000A7B0: 7E0A4505
	v_rcp_f32_e32 v6, v6                                       // 00000000A7B4: 7E0C4506
	v_rcp_f32_e32 v7, v7                                       // 00000000A7B8: 7E0E4507
	v_mul_f32_e32 v68, v68, v4                                 // 00000000A7BC: 0A880944
	v_mul_f32_e32 v69, v69, v5                                 // 00000000A7C0: 0A8A0B45
	v_mul_f32_e32 v70, v70, v6                                 // 00000000A7C4: 0A8C0D46
	v_mul_f32_e32 v71, v71, v7                                 // 00000000A7C8: 0A8E0F47
	v_mul_f32_e32 v68, v68, v116                               // 00000000A7CC: 0A88E944
	v_mul_f32_e32 v69, v69, v117                               // 00000000A7D0: 0A8AEB45
	v_mul_f32_e32 v70, v70, v118                               // 00000000A7D4: 0A8CED46
	v_mul_f32_e32 v71, v71, v119                               // 00000000A7D8: 0A8EEF47
	v_mul_f32_e64 v4, -v72, s6                                 // 00000000A7DC: D1050004 20000D48
	v_mul_f32_e64 v5, -v73, s6                                 // 00000000A7E4: D1050005 20000D49
	v_mul_f32_e64 v6, -v74, s6                                 // 00000000A7EC: D1050006 20000D4A
	v_mul_f32_e64 v7, -v75, s6                                 // 00000000A7F4: D1050007 20000D4B
	v_exp_f32_e32 v4, v4                                       // 00000000A7FC: 7E084104
	v_exp_f32_e32 v5, v5                                       // 00000000A800: 7E0A4105
	v_exp_f32_e32 v6, v6                                       // 00000000A804: 7E0C4106
	v_exp_f32_e32 v7, v7                                       // 00000000A808: 7E0E4107
	v_add_f32_e64 v4, v4, 1.0                                  // 00000000A80C: D1010004 0001E504
	v_add_f32_e64 v5, v5, 1.0                                  // 00000000A814: D1010005 0001E505
	v_add_f32_e64 v6, v6, 1.0                                  // 00000000A81C: D1010006 0001E506
	v_add_f32_e64 v7, v7, 1.0                                  // 00000000A824: D1010007 0001E507
	v_rcp_f32_e32 v4, v4                                       // 00000000A82C: 7E084504
	v_rcp_f32_e32 v5, v5                                       // 00000000A830: 7E0A4505
	v_rcp_f32_e32 v6, v6                                       // 00000000A834: 7E0C4506
	v_rcp_f32_e32 v7, v7                                       // 00000000A838: 7E0E4507
	v_mul_f32_e32 v72, v72, v4                                 // 00000000A83C: 0A900948
	v_mul_f32_e32 v73, v73, v5                                 // 00000000A840: 0A920B49
	v_mul_f32_e32 v74, v74, v6                                 // 00000000A844: 0A940D4A
	v_mul_f32_e32 v75, v75, v7                                 // 00000000A848: 0A960F4B
	v_mul_f32_e32 v72, v72, v120                               // 00000000A84C: 0A90F148
	v_mul_f32_e32 v73, v73, v121                               // 00000000A850: 0A92F349
	v_mul_f32_e32 v74, v74, v122                               // 00000000A854: 0A94F54A
	v_mul_f32_e32 v75, v75, v123                               // 00000000A858: 0A96F74B
	v_mul_f32_e64 v4, -v76, s6                                 // 00000000A85C: D1050004 20000D4C
	v_mul_f32_e64 v5, -v77, s6                                 // 00000000A864: D1050005 20000D4D
	v_mul_f32_e64 v6, -v78, s6                                 // 00000000A86C: D1050006 20000D4E
	v_mul_f32_e64 v7, -v79, s6                                 // 00000000A874: D1050007 20000D4F
	v_exp_f32_e32 v4, v4                                       // 00000000A87C: 7E084104
	v_exp_f32_e32 v5, v5                                       // 00000000A880: 7E0A4105
	v_exp_f32_e32 v6, v6                                       // 00000000A884: 7E0C4106
	v_exp_f32_e32 v7, v7                                       // 00000000A888: 7E0E4107
	v_add_f32_e64 v4, v4, 1.0                                  // 00000000A88C: D1010004 0001E504
	v_add_f32_e64 v5, v5, 1.0                                  // 00000000A894: D1010005 0001E505
	v_add_f32_e64 v6, v6, 1.0                                  // 00000000A89C: D1010006 0001E506
	v_add_f32_e64 v7, v7, 1.0                                  // 00000000A8A4: D1010007 0001E507
	v_rcp_f32_e32 v4, v4                                       // 00000000A8AC: 7E084504
	v_rcp_f32_e32 v5, v5                                       // 00000000A8B0: 7E0A4505
	v_rcp_f32_e32 v6, v6                                       // 00000000A8B4: 7E0C4506
	v_rcp_f32_e32 v7, v7                                       // 00000000A8B8: 7E0E4507
	v_mul_f32_e32 v76, v76, v4                                 // 00000000A8BC: 0A98094C
	v_mul_f32_e32 v77, v77, v5                                 // 00000000A8C0: 0A9A0B4D
	v_mul_f32_e32 v78, v78, v6                                 // 00000000A8C4: 0A9C0D4E
	v_mul_f32_e32 v79, v79, v7                                 // 00000000A8C8: 0A9E0F4F
	v_mul_f32_e32 v76, v76, v124                               // 00000000A8CC: 0A98F94C
	v_mul_f32_e32 v77, v77, v125                               // 00000000A8D0: 0A9AFB4D
	v_mul_f32_e32 v78, v78, v126                               // 00000000A8D4: 0A9CFD4E
	v_mul_f32_e32 v79, v79, v127                               // 00000000A8D8: 0A9EFF4F
	v_mul_f32_e64 v4, -v80, s6                                 // 00000000A8DC: D1050004 20000D50
	v_mul_f32_e64 v5, -v81, s6                                 // 00000000A8E4: D1050005 20000D51
	v_mul_f32_e64 v6, -v82, s6                                 // 00000000A8EC: D1050006 20000D52
	v_mul_f32_e64 v7, -v83, s6                                 // 00000000A8F4: D1050007 20000D53
	v_exp_f32_e32 v4, v4                                       // 00000000A8FC: 7E084104
	v_exp_f32_e32 v5, v5                                       // 00000000A900: 7E0A4105
	v_exp_f32_e32 v6, v6                                       // 00000000A904: 7E0C4106
	v_exp_f32_e32 v7, v7                                       // 00000000A908: 7E0E4107
	v_add_f32_e64 v4, v4, 1.0                                  // 00000000A90C: D1010004 0001E504
	v_add_f32_e64 v5, v5, 1.0                                  // 00000000A914: D1010005 0001E505
	v_add_f32_e64 v6, v6, 1.0                                  // 00000000A91C: D1010006 0001E506
	v_add_f32_e64 v7, v7, 1.0                                  // 00000000A924: D1010007 0001E507
	v_rcp_f32_e32 v4, v4                                       // 00000000A92C: 7E084504
	v_rcp_f32_e32 v5, v5                                       // 00000000A930: 7E0A4505
	v_rcp_f32_e32 v6, v6                                       // 00000000A934: 7E0C4506
	v_rcp_f32_e32 v7, v7                                       // 00000000A938: 7E0E4507
	v_mul_f32_e32 v80, v80, v4                                 // 00000000A93C: 0AA00950
	v_mul_f32_e32 v81, v81, v5                                 // 00000000A940: 0AA20B51
	v_mul_f32_e32 v82, v82, v6                                 // 00000000A944: 0AA40D52
	v_mul_f32_e32 v83, v83, v7                                 // 00000000A948: 0AA60F53
	v_mul_f32_e32 v80, v80, v128                               // 00000000A94C: 0AA10150
	v_mul_f32_e32 v81, v81, v129                               // 00000000A950: 0AA30351
	v_mul_f32_e32 v82, v82, v130                               // 00000000A954: 0AA50552
	v_mul_f32_e32 v83, v83, v131                               // 00000000A958: 0AA70753
	v_mul_f32_e64 v4, -v84, s6                                 // 00000000A95C: D1050004 20000D54
	v_mul_f32_e64 v5, -v85, s6                                 // 00000000A964: D1050005 20000D55
	v_mul_f32_e64 v6, -v86, s6                                 // 00000000A96C: D1050006 20000D56
	v_mul_f32_e64 v7, -v87, s6                                 // 00000000A974: D1050007 20000D57
	v_exp_f32_e32 v4, v4                                       // 00000000A97C: 7E084104
	v_exp_f32_e32 v5, v5                                       // 00000000A980: 7E0A4105
	v_exp_f32_e32 v6, v6                                       // 00000000A984: 7E0C4106
	v_exp_f32_e32 v7, v7                                       // 00000000A988: 7E0E4107
	v_add_f32_e64 v4, v4, 1.0                                  // 00000000A98C: D1010004 0001E504
	v_add_f32_e64 v5, v5, 1.0                                  // 00000000A994: D1010005 0001E505
	v_add_f32_e64 v6, v6, 1.0                                  // 00000000A99C: D1010006 0001E506
	v_add_f32_e64 v7, v7, 1.0                                  // 00000000A9A4: D1010007 0001E507
	v_rcp_f32_e32 v4, v4                                       // 00000000A9AC: 7E084504
	v_rcp_f32_e32 v5, v5                                       // 00000000A9B0: 7E0A4505
	v_rcp_f32_e32 v6, v6                                       // 00000000A9B4: 7E0C4506
	v_rcp_f32_e32 v7, v7                                       // 00000000A9B8: 7E0E4507
	v_mul_f32_e32 v84, v84, v4                                 // 00000000A9BC: 0AA80954
	v_mul_f32_e32 v85, v85, v5                                 // 00000000A9C0: 0AAA0B55
	v_mul_f32_e32 v86, v86, v6                                 // 00000000A9C4: 0AAC0D56
	v_mul_f32_e32 v87, v87, v7                                 // 00000000A9C8: 0AAE0F57
	v_mul_f32_e32 v84, v84, v132                               // 00000000A9CC: 0AA90954
	v_mul_f32_e32 v85, v85, v133                               // 00000000A9D0: 0AAB0B55
	v_mul_f32_e32 v86, v86, v134                               // 00000000A9D4: 0AAD0D56
	v_mul_f32_e32 v87, v87, v135                               // 00000000A9D8: 0AAF0F57
	v_mul_f32_e64 v4, -v88, s6                                 // 00000000A9DC: D1050004 20000D58
	v_mul_f32_e64 v5, -v89, s6                                 // 00000000A9E4: D1050005 20000D59
	v_mul_f32_e64 v6, -v90, s6                                 // 00000000A9EC: D1050006 20000D5A
	v_mul_f32_e64 v7, -v91, s6                                 // 00000000A9F4: D1050007 20000D5B
	v_exp_f32_e32 v4, v4                                       // 00000000A9FC: 7E084104
	v_exp_f32_e32 v5, v5                                       // 00000000AA00: 7E0A4105
	v_exp_f32_e32 v6, v6                                       // 00000000AA04: 7E0C4106
	v_exp_f32_e32 v7, v7                                       // 00000000AA08: 7E0E4107
	v_add_f32_e64 v4, v4, 1.0                                  // 00000000AA0C: D1010004 0001E504
	v_add_f32_e64 v5, v5, 1.0                                  // 00000000AA14: D1010005 0001E505
	v_add_f32_e64 v6, v6, 1.0                                  // 00000000AA1C: D1010006 0001E506
	v_add_f32_e64 v7, v7, 1.0                                  // 00000000AA24: D1010007 0001E507
	v_rcp_f32_e32 v4, v4                                       // 00000000AA2C: 7E084504
	v_rcp_f32_e32 v5, v5                                       // 00000000AA30: 7E0A4505
	v_rcp_f32_e32 v6, v6                                       // 00000000AA34: 7E0C4506
	v_rcp_f32_e32 v7, v7                                       // 00000000AA38: 7E0E4507
	v_mul_f32_e32 v88, v88, v4                                 // 00000000AA3C: 0AB00958
	v_mul_f32_e32 v89, v89, v5                                 // 00000000AA40: 0AB20B59
	v_mul_f32_e32 v90, v90, v6                                 // 00000000AA44: 0AB40D5A
	v_mul_f32_e32 v91, v91, v7                                 // 00000000AA48: 0AB60F5B
	v_mul_f32_e32 v88, v88, v136                               // 00000000AA4C: 0AB11158
	v_mul_f32_e32 v89, v89, v137                               // 00000000AA50: 0AB31359
	v_mul_f32_e32 v90, v90, v138                               // 00000000AA54: 0AB5155A
	v_mul_f32_e32 v91, v91, v139                               // 00000000AA58: 0AB7175B
	v_mul_f32_e64 v4, -v92, s6                                 // 00000000AA5C: D1050004 20000D5C
	v_mul_f32_e64 v5, -v93, s6                                 // 00000000AA64: D1050005 20000D5D
	v_mul_f32_e64 v6, -v94, s6                                 // 00000000AA6C: D1050006 20000D5E
	v_mul_f32_e64 v7, -v95, s6                                 // 00000000AA74: D1050007 20000D5F
	v_exp_f32_e32 v4, v4                                       // 00000000AA7C: 7E084104
	v_exp_f32_e32 v5, v5                                       // 00000000AA80: 7E0A4105
	v_exp_f32_e32 v6, v6                                       // 00000000AA84: 7E0C4106
	v_exp_f32_e32 v7, v7                                       // 00000000AA88: 7E0E4107
	v_add_f32_e64 v4, v4, 1.0                                  // 00000000AA8C: D1010004 0001E504
	v_add_f32_e64 v5, v5, 1.0                                  // 00000000AA94: D1010005 0001E505
	v_add_f32_e64 v6, v6, 1.0                                  // 00000000AA9C: D1010006 0001E506
	v_add_f32_e64 v7, v7, 1.0                                  // 00000000AAA4: D1010007 0001E507
	v_rcp_f32_e32 v4, v4                                       // 00000000AAAC: 7E084504
	v_rcp_f32_e32 v5, v5                                       // 00000000AAB0: 7E0A4505
	v_rcp_f32_e32 v6, v6                                       // 00000000AAB4: 7E0C4506
	v_rcp_f32_e32 v7, v7                                       // 00000000AAB8: 7E0E4507
	v_mul_f32_e32 v92, v92, v4                                 // 00000000AABC: 0AB8095C
	v_mul_f32_e32 v93, v93, v5                                 // 00000000AAC0: 0ABA0B5D
	v_mul_f32_e32 v94, v94, v6                                 // 00000000AAC4: 0ABC0D5E
	v_mul_f32_e32 v95, v95, v7                                 // 00000000AAC8: 0ABE0F5F
	v_mul_f32_e32 v92, v92, v140                               // 00000000AACC: 0AB9195C
	v_mul_f32_e32 v93, v93, v141                               // 00000000AAD0: 0ABB1B5D
	v_mul_f32_e32 v94, v94, v142                               // 00000000AAD4: 0ABD1D5E
	v_mul_f32_e32 v95, v95, v143                               // 00000000AAD8: 0ABF1F5F
	v_mul_f32_e64 v4, -v96, s6                                 // 00000000AADC: D1050004 20000D60
	v_mul_f32_e64 v5, -v97, s6                                 // 00000000AAE4: D1050005 20000D61
	v_mul_f32_e64 v6, -v98, s6                                 // 00000000AAEC: D1050006 20000D62
	v_mul_f32_e64 v7, -v99, s6                                 // 00000000AAF4: D1050007 20000D63
	v_exp_f32_e32 v4, v4                                       // 00000000AAFC: 7E084104
	v_exp_f32_e32 v5, v5                                       // 00000000AB00: 7E0A4105
	v_exp_f32_e32 v6, v6                                       // 00000000AB04: 7E0C4106
	v_exp_f32_e32 v7, v7                                       // 00000000AB08: 7E0E4107
	v_add_f32_e64 v4, v4, 1.0                                  // 00000000AB0C: D1010004 0001E504
	v_add_f32_e64 v5, v5, 1.0                                  // 00000000AB14: D1010005 0001E505
	v_add_f32_e64 v6, v6, 1.0                                  // 00000000AB1C: D1010006 0001E506
	v_add_f32_e64 v7, v7, 1.0                                  // 00000000AB24: D1010007 0001E507
	v_rcp_f32_e32 v4, v4                                       // 00000000AB2C: 7E084504
	v_rcp_f32_e32 v5, v5                                       // 00000000AB30: 7E0A4505
	v_rcp_f32_e32 v6, v6                                       // 00000000AB34: 7E0C4506
	v_rcp_f32_e32 v7, v7                                       // 00000000AB38: 7E0E4507
	v_mul_f32_e32 v96, v96, v4                                 // 00000000AB3C: 0AC00960
	v_mul_f32_e32 v97, v97, v5                                 // 00000000AB40: 0AC20B61
	v_mul_f32_e32 v98, v98, v6                                 // 00000000AB44: 0AC40D62
	v_mul_f32_e32 v99, v99, v7                                 // 00000000AB48: 0AC60F63
	v_mul_f32_e32 v96, v96, v144                               // 00000000AB4C: 0AC12160
	v_mul_f32_e32 v97, v97, v145                               // 00000000AB50: 0AC32361
	v_mul_f32_e32 v98, v98, v146                               // 00000000AB54: 0AC52562
	v_mul_f32_e32 v99, v99, v147                               // 00000000AB58: 0AC72763

000000000000ab5c <label_205A>:
	v_cmp_u_f32_e64 s[46:47], v52, v52                         // 00000000AB5C: D048002E 00026934
	v_add3_u32 v16, v52, v19, 1                                // 00000000AB64: D1FF0010 02062734
	v_cndmask_b32_e64 v4, v16, v18, s[46:47]                   // 00000000AB6C: D1000004 00BA2510
	v_cmp_u_f32_e64 s[46:47], v53, v53                         // 00000000AB74: D048002E 00026B35
	v_add3_u32 v16, v53, v19, 1                                // 00000000AB7C: D1FF0010 02062735
	v_cndmask_b32_e64 v5, v16, v18, s[46:47]                   // 00000000AB84: D1000005 00BA2510
	v_perm_b32 v52, v5, v4, s52                                // 00000000AB8C: D1ED0034 00D20905
	v_cmp_u_f32_e64 s[46:47], v54, v54                         // 00000000AB94: D048002E 00026D36
	v_add3_u32 v16, v54, v19, 1                                // 00000000AB9C: D1FF0010 02062736
	v_cndmask_b32_e64 v4, v16, v18, s[46:47]                   // 00000000ABA4: D1000004 00BA2510
	v_cmp_u_f32_e64 s[46:47], v55, v55                         // 00000000ABAC: D048002E 00026F37
	v_add3_u32 v16, v55, v19, 1                                // 00000000ABB4: D1FF0010 02062737
	v_cndmask_b32_e64 v5, v16, v18, s[46:47]                   // 00000000ABBC: D1000005 00BA2510
	v_perm_b32 v53, v5, v4, s52                                // 00000000ABC4: D1ED0035 00D20905
	v_cmp_u_f32_e64 s[46:47], v56, v56                         // 00000000ABCC: D048002E 00027138
	v_add3_u32 v16, v56, v19, 1                                // 00000000ABD4: D1FF0010 02062738
	v_cndmask_b32_e64 v4, v16, v18, s[46:47]                   // 00000000ABDC: D1000004 00BA2510
	v_cmp_u_f32_e64 s[46:47], v57, v57                         // 00000000ABE4: D048002E 00027339
	v_add3_u32 v16, v57, v19, 1                                // 00000000ABEC: D1FF0010 02062739
	v_cndmask_b32_e64 v5, v16, v18, s[46:47]                   // 00000000ABF4: D1000005 00BA2510
	v_perm_b32 v54, v5, v4, s52                                // 00000000ABFC: D1ED0036 00D20905
	v_cmp_u_f32_e64 s[46:47], v58, v58                         // 00000000AC04: D048002E 0002753A
	v_add3_u32 v16, v58, v19, 1                                // 00000000AC0C: D1FF0010 0206273A
	v_cndmask_b32_e64 v4, v16, v18, s[46:47]                   // 00000000AC14: D1000004 00BA2510
	v_cmp_u_f32_e64 s[46:47], v59, v59                         // 00000000AC1C: D048002E 0002773B
	v_add3_u32 v16, v59, v19, 1                                // 00000000AC24: D1FF0010 0206273B
	v_cndmask_b32_e64 v5, v16, v18, s[46:47]                   // 00000000AC2C: D1000005 00BA2510
	v_perm_b32 v55, v5, v4, s52                                // 00000000AC34: D1ED0037 00D20905
	v_cmp_u_f32_e64 s[46:47], v60, v60                         // 00000000AC3C: D048002E 0002793C
	v_add3_u32 v16, v60, v19, 1                                // 00000000AC44: D1FF0010 0206273C
	v_cndmask_b32_e64 v4, v16, v18, s[46:47]                   // 00000000AC4C: D1000004 00BA2510
	v_cmp_u_f32_e64 s[46:47], v61, v61                         // 00000000AC54: D048002E 00027B3D
	v_add3_u32 v16, v61, v19, 1                                // 00000000AC5C: D1FF0010 0206273D
	v_cndmask_b32_e64 v5, v16, v18, s[46:47]                   // 00000000AC64: D1000005 00BA2510
	v_perm_b32 v56, v5, v4, s52                                // 00000000AC6C: D1ED0038 00D20905
	v_cmp_u_f32_e64 s[46:47], v62, v62                         // 00000000AC74: D048002E 00027D3E
	v_add3_u32 v16, v62, v19, 1                                // 00000000AC7C: D1FF0010 0206273E
	v_cndmask_b32_e64 v4, v16, v18, s[46:47]                   // 00000000AC84: D1000004 00BA2510
	v_cmp_u_f32_e64 s[46:47], v63, v63                         // 00000000AC8C: D048002E 00027F3F
	v_add3_u32 v16, v63, v19, 1                                // 00000000AC94: D1FF0010 0206273F
	v_cndmask_b32_e64 v5, v16, v18, s[46:47]                   // 00000000AC9C: D1000005 00BA2510
	v_perm_b32 v57, v5, v4, s52                                // 00000000ACA4: D1ED0039 00D20905
	v_cmp_u_f32_e64 s[46:47], v64, v64                         // 00000000ACAC: D048002E 00028140
	v_add3_u32 v16, v64, v19, 1                                // 00000000ACB4: D1FF0010 02062740
	v_cndmask_b32_e64 v4, v16, v18, s[46:47]                   // 00000000ACBC: D1000004 00BA2510
	v_cmp_u_f32_e64 s[46:47], v65, v65                         // 00000000ACC4: D048002E 00028341
	v_add3_u32 v16, v65, v19, 1                                // 00000000ACCC: D1FF0010 02062741
	v_cndmask_b32_e64 v5, v16, v18, s[46:47]                   // 00000000ACD4: D1000005 00BA2510
	v_perm_b32 v58, v5, v4, s52                                // 00000000ACDC: D1ED003A 00D20905
	v_cmp_u_f32_e64 s[46:47], v66, v66                         // 00000000ACE4: D048002E 00028542
	v_add3_u32 v16, v66, v19, 1                                // 00000000ACEC: D1FF0010 02062742
	v_cndmask_b32_e64 v4, v16, v18, s[46:47]                   // 00000000ACF4: D1000004 00BA2510
	v_cmp_u_f32_e64 s[46:47], v67, v67                         // 00000000ACFC: D048002E 00028743
	v_add3_u32 v16, v67, v19, 1                                // 00000000AD04: D1FF0010 02062743
	v_cndmask_b32_e64 v5, v16, v18, s[46:47]                   // 00000000AD0C: D1000005 00BA2510
	v_perm_b32 v59, v5, v4, s52                                // 00000000AD14: D1ED003B 00D20905
	v_cmp_u_f32_e64 s[46:47], v68, v68                         // 00000000AD1C: D048002E 00028944
	v_add3_u32 v16, v68, v19, 1                                // 00000000AD24: D1FF0010 02062744
	v_cndmask_b32_e64 v4, v16, v18, s[46:47]                   // 00000000AD2C: D1000004 00BA2510
	v_cmp_u_f32_e64 s[46:47], v69, v69                         // 00000000AD34: D048002E 00028B45
	v_add3_u32 v16, v69, v19, 1                                // 00000000AD3C: D1FF0010 02062745
	v_cndmask_b32_e64 v5, v16, v18, s[46:47]                   // 00000000AD44: D1000005 00BA2510
	v_perm_b32 v60, v5, v4, s52                                // 00000000AD4C: D1ED003C 00D20905
	v_cmp_u_f32_e64 s[46:47], v70, v70                         // 00000000AD54: D048002E 00028D46
	v_add3_u32 v16, v70, v19, 1                                // 00000000AD5C: D1FF0010 02062746
	v_cndmask_b32_e64 v4, v16, v18, s[46:47]                   // 00000000AD64: D1000004 00BA2510
	v_cmp_u_f32_e64 s[46:47], v71, v71                         // 00000000AD6C: D048002E 00028F47
	v_add3_u32 v16, v71, v19, 1                                // 00000000AD74: D1FF0010 02062747
	v_cndmask_b32_e64 v5, v16, v18, s[46:47]                   // 00000000AD7C: D1000005 00BA2510
	v_perm_b32 v61, v5, v4, s52                                // 00000000AD84: D1ED003D 00D20905
	v_cmp_u_f32_e64 s[46:47], v72, v72                         // 00000000AD8C: D048002E 00029148
	v_add3_u32 v16, v72, v19, 1                                // 00000000AD94: D1FF0010 02062748
	v_cndmask_b32_e64 v4, v16, v18, s[46:47]                   // 00000000AD9C: D1000004 00BA2510
	v_cmp_u_f32_e64 s[46:47], v73, v73                         // 00000000ADA4: D048002E 00029349
	v_add3_u32 v16, v73, v19, 1                                // 00000000ADAC: D1FF0010 02062749
	v_cndmask_b32_e64 v5, v16, v18, s[46:47]                   // 00000000ADB4: D1000005 00BA2510
	v_perm_b32 v62, v5, v4, s52                                // 00000000ADBC: D1ED003E 00D20905
	v_cmp_u_f32_e64 s[46:47], v74, v74                         // 00000000ADC4: D048002E 0002954A
	v_add3_u32 v16, v74, v19, 1                                // 00000000ADCC: D1FF0010 0206274A
	v_cndmask_b32_e64 v4, v16, v18, s[46:47]                   // 00000000ADD4: D1000004 00BA2510
	v_cmp_u_f32_e64 s[46:47], v75, v75                         // 00000000ADDC: D048002E 0002974B
	v_add3_u32 v16, v75, v19, 1                                // 00000000ADE4: D1FF0010 0206274B
	v_cndmask_b32_e64 v5, v16, v18, s[46:47]                   // 00000000ADEC: D1000005 00BA2510
	v_perm_b32 v63, v5, v4, s52                                // 00000000ADF4: D1ED003F 00D20905
	v_cmp_u_f32_e64 s[46:47], v76, v76                         // 00000000ADFC: D048002E 0002994C
	v_add3_u32 v16, v76, v19, 1                                // 00000000AE04: D1FF0010 0206274C
	v_cndmask_b32_e64 v4, v16, v18, s[46:47]                   // 00000000AE0C: D1000004 00BA2510
	v_cmp_u_f32_e64 s[46:47], v77, v77                         // 00000000AE14: D048002E 00029B4D
	v_add3_u32 v16, v77, v19, 1                                // 00000000AE1C: D1FF0010 0206274D
	v_cndmask_b32_e64 v5, v16, v18, s[46:47]                   // 00000000AE24: D1000005 00BA2510
	v_perm_b32 v64, v5, v4, s52                                // 00000000AE2C: D1ED0040 00D20905
	v_cmp_u_f32_e64 s[46:47], v78, v78                         // 00000000AE34: D048002E 00029D4E
	v_add3_u32 v16, v78, v19, 1                                // 00000000AE3C: D1FF0010 0206274E
	v_cndmask_b32_e64 v4, v16, v18, s[46:47]                   // 00000000AE44: D1000004 00BA2510
	v_cmp_u_f32_e64 s[46:47], v79, v79                         // 00000000AE4C: D048002E 00029F4F
	v_add3_u32 v16, v79, v19, 1                                // 00000000AE54: D1FF0010 0206274F
	v_cndmask_b32_e64 v5, v16, v18, s[46:47]                   // 00000000AE5C: D1000005 00BA2510
	v_perm_b32 v65, v5, v4, s52                                // 00000000AE64: D1ED0041 00D20905
	v_cmp_u_f32_e64 s[46:47], v80, v80                         // 00000000AE6C: D048002E 0002A150
	v_add3_u32 v16, v80, v19, 1                                // 00000000AE74: D1FF0010 02062750
	v_cndmask_b32_e64 v4, v16, v18, s[46:47]                   // 00000000AE7C: D1000004 00BA2510
	v_cmp_u_f32_e64 s[46:47], v81, v81                         // 00000000AE84: D048002E 0002A351
	v_add3_u32 v16, v81, v19, 1                                // 00000000AE8C: D1FF0010 02062751
	v_cndmask_b32_e64 v5, v16, v18, s[46:47]                   // 00000000AE94: D1000005 00BA2510
	v_perm_b32 v66, v5, v4, s52                                // 00000000AE9C: D1ED0042 00D20905
	v_cmp_u_f32_e64 s[46:47], v82, v82                         // 00000000AEA4: D048002E 0002A552
	v_add3_u32 v16, v82, v19, 1                                // 00000000AEAC: D1FF0010 02062752
	v_cndmask_b32_e64 v4, v16, v18, s[46:47]                   // 00000000AEB4: D1000004 00BA2510
	v_cmp_u_f32_e64 s[46:47], v83, v83                         // 00000000AEBC: D048002E 0002A753
	v_add3_u32 v16, v83, v19, 1                                // 00000000AEC4: D1FF0010 02062753
	v_cndmask_b32_e64 v5, v16, v18, s[46:47]                   // 00000000AECC: D1000005 00BA2510
	v_perm_b32 v67, v5, v4, s52                                // 00000000AED4: D1ED0043 00D20905
	v_cmp_u_f32_e64 s[46:47], v84, v84                         // 00000000AEDC: D048002E 0002A954
	v_add3_u32 v16, v84, v19, 1                                // 00000000AEE4: D1FF0010 02062754
	v_cndmask_b32_e64 v4, v16, v18, s[46:47]                   // 00000000AEEC: D1000004 00BA2510
	v_cmp_u_f32_e64 s[46:47], v85, v85                         // 00000000AEF4: D048002E 0002AB55
	v_add3_u32 v16, v85, v19, 1                                // 00000000AEFC: D1FF0010 02062755
	v_cndmask_b32_e64 v5, v16, v18, s[46:47]                   // 00000000AF04: D1000005 00BA2510
	v_perm_b32 v68, v5, v4, s52                                // 00000000AF0C: D1ED0044 00D20905
	v_cmp_u_f32_e64 s[46:47], v86, v86                         // 00000000AF14: D048002E 0002AD56
	v_add3_u32 v16, v86, v19, 1                                // 00000000AF1C: D1FF0010 02062756
	v_cndmask_b32_e64 v4, v16, v18, s[46:47]                   // 00000000AF24: D1000004 00BA2510
	v_cmp_u_f32_e64 s[46:47], v87, v87                         // 00000000AF2C: D048002E 0002AF57
	v_add3_u32 v16, v87, v19, 1                                // 00000000AF34: D1FF0010 02062757
	v_cndmask_b32_e64 v5, v16, v18, s[46:47]                   // 00000000AF3C: D1000005 00BA2510
	v_perm_b32 v69, v5, v4, s52                                // 00000000AF44: D1ED0045 00D20905
	v_cmp_u_f32_e64 s[46:47], v88, v88                         // 00000000AF4C: D048002E 0002B158
	v_add3_u32 v16, v88, v19, 1                                // 00000000AF54: D1FF0010 02062758
	v_cndmask_b32_e64 v4, v16, v18, s[46:47]                   // 00000000AF5C: D1000004 00BA2510
	v_cmp_u_f32_e64 s[46:47], v89, v89                         // 00000000AF64: D048002E 0002B359
	v_add3_u32 v16, v89, v19, 1                                // 00000000AF6C: D1FF0010 02062759
	v_cndmask_b32_e64 v5, v16, v18, s[46:47]                   // 00000000AF74: D1000005 00BA2510
	v_perm_b32 v70, v5, v4, s52                                // 00000000AF7C: D1ED0046 00D20905
	v_cmp_u_f32_e64 s[46:47], v90, v90                         // 00000000AF84: D048002E 0002B55A
	v_add3_u32 v16, v90, v19, 1                                // 00000000AF8C: D1FF0010 0206275A
	v_cndmask_b32_e64 v4, v16, v18, s[46:47]                   // 00000000AF94: D1000004 00BA2510
	v_cmp_u_f32_e64 s[46:47], v91, v91                         // 00000000AF9C: D048002E 0002B75B
	v_add3_u32 v16, v91, v19, 1                                // 00000000AFA4: D1FF0010 0206275B
	v_cndmask_b32_e64 v5, v16, v18, s[46:47]                   // 00000000AFAC: D1000005 00BA2510
	v_perm_b32 v71, v5, v4, s52                                // 00000000AFB4: D1ED0047 00D20905
	v_cmp_u_f32_e64 s[46:47], v92, v92                         // 00000000AFBC: D048002E 0002B95C
	v_add3_u32 v16, v92, v19, 1                                // 00000000AFC4: D1FF0010 0206275C
	v_cndmask_b32_e64 v4, v16, v18, s[46:47]                   // 00000000AFCC: D1000004 00BA2510
	v_cmp_u_f32_e64 s[46:47], v93, v93                         // 00000000AFD4: D048002E 0002BB5D
	v_add3_u32 v16, v93, v19, 1                                // 00000000AFDC: D1FF0010 0206275D
	v_cndmask_b32_e64 v5, v16, v18, s[46:47]                   // 00000000AFE4: D1000005 00BA2510
	v_perm_b32 v72, v5, v4, s52                                // 00000000AFEC: D1ED0048 00D20905
	v_cmp_u_f32_e64 s[46:47], v94, v94                         // 00000000AFF4: D048002E 0002BD5E
	v_add3_u32 v16, v94, v19, 1                                // 00000000AFFC: D1FF0010 0206275E
	v_cndmask_b32_e64 v4, v16, v18, s[46:47]                   // 00000000B004: D1000004 00BA2510
	v_cmp_u_f32_e64 s[46:47], v95, v95                         // 00000000B00C: D048002E 0002BF5F
	v_add3_u32 v16, v95, v19, 1                                // 00000000B014: D1FF0010 0206275F
	v_cndmask_b32_e64 v5, v16, v18, s[46:47]                   // 00000000B01C: D1000005 00BA2510
	v_perm_b32 v73, v5, v4, s52                                // 00000000B024: D1ED0049 00D20905
	v_cmp_u_f32_e64 s[46:47], v96, v96                         // 00000000B02C: D048002E 0002C160
	v_add3_u32 v16, v96, v19, 1                                // 00000000B034: D1FF0010 02062760
	v_cndmask_b32_e64 v4, v16, v18, s[46:47]                   // 00000000B03C: D1000004 00BA2510
	v_cmp_u_f32_e64 s[46:47], v97, v97                         // 00000000B044: D048002E 0002C361
	v_add3_u32 v16, v97, v19, 1                                // 00000000B04C: D1FF0010 02062761
	v_cndmask_b32_e64 v5, v16, v18, s[46:47]                   // 00000000B054: D1000005 00BA2510
	v_perm_b32 v74, v5, v4, s52                                // 00000000B05C: D1ED004A 00D20905
	v_cmp_u_f32_e64 s[46:47], v98, v98                         // 00000000B064: D048002E 0002C562
	v_add3_u32 v16, v98, v19, 1                                // 00000000B06C: D1FF0010 02062762
	v_cndmask_b32_e64 v4, v16, v18, s[46:47]                   // 00000000B074: D1000004 00BA2510
	v_cmp_u_f32_e64 s[46:47], v99, v99                         // 00000000B07C: D048002E 0002C763
	v_add3_u32 v16, v99, v19, 1                                // 00000000B084: D1FF0010 02062763
	v_cndmask_b32_e64 v5, v16, v18, s[46:47]                   // 00000000B08C: D1000005 00BA2510
	v_perm_b32 v75, v5, v4, s52                                // 00000000B094: D1ED004B 00D20905
	ds_write_b64 v20, v[52:53]                                 // 00000000B09C: D89A0000 00003414
	ds_write_b64 v20, v[54:55] offset:8704                     // 00000000B0A4: D89A2200 00003614
	ds_write_b64 v20, v[56:57] offset:17408                    // 00000000B0AC: D89A4400 00003814
	ds_write_b64 v20, v[58:59] offset:2176                     // 00000000B0B4: D89A0880 00003A14
	ds_write_b64 v20, v[60:61] offset:10880                    // 00000000B0BC: D89A2A80 00003C14
	ds_write_b64 v20, v[62:63] offset:19584                    // 00000000B0C4: D89A4C80 00003E14
	ds_write_b64 v20, v[64:65] offset:4352                     // 00000000B0CC: D89A1100 00004014
	ds_write_b64 v20, v[66:67] offset:13056                    // 00000000B0D4: D89A3300 00004214
	ds_write_b64 v20, v[68:69] offset:21760                    // 00000000B0DC: D89A5500 00004414
	ds_write_b64 v20, v[70:71] offset:6528                     // 00000000B0E4: D89A1980 00004614
	ds_write_b64 v20, v[72:73] offset:15232                    // 00000000B0EC: D89A3B80 00004814
	ds_write_b64 v20, v[74:75] offset:23936                    // 00000000B0F4: D89A5D80 00004A14
	v_lshrrev_b32_e32 v4, 5, v0                                // 00000000B0FC: 20080085
	v_xor_b32_e32 v5, 1, v4                                    // 00000000B100: 2A0A0881
	s_mul_i32 s60, s65, 2                                      // 00000000B104: 923C8241
	s_cmp_eq_u32 s88, 0                                        // 00000000B108: BF068058
	s_cselect_b32 s61, 1, 4                                    // 00000000B10C: 853D8481
	s_mul_i32 s60, s61, s60                                    // 00000000B110: 923C3C3D
	v_readlane_b32 s82, v3, 0                                  // 00000000B114: D2890052 00010103
	s_lshr_b32 s61, s82, 24                                    // 00000000B11C: 8F3D9852
	s_and_b32 s82, s82, 0xffffff                               // 00000000B120: 8652FF52 00FFFFFF
	s_mul_i32 s82, s82, s71                                    // 00000000B128: 92524752
	s_mul_i32 s61, s60, s61                                    // 00000000B12C: 923D3D3C
	s_add_u32 s82, s82, s61                                    // 00000000B130: 80523D52
	v_mul_lo_u32 v6, v5, s82                                   // 00000000B134: D2850006 0000A505
	v_readlane_b32 s82, v3, 1                                  // 00000000B13C: D2890052 00010303
	s_lshr_b32 s61, s82, 24                                    // 00000000B144: 8F3D9852
	s_and_b32 s82, s82, 0xffffff                               // 00000000B148: 8652FF52 00FFFFFF
	s_mul_i32 s82, s82, s71                                    // 00000000B150: 92524752
	s_mul_i32 s61, s60, s61                                    // 00000000B154: 923D3D3C
	s_add_u32 s82, s82, s61                                    // 00000000B158: 80523D52
	v_mul_lo_u32 v7, v4, s82                                   // 00000000B15C: D2850007 0000A504
	v_add_u32_e32 v42, v6, v7                                  // 00000000B164: 68540F06
	v_readlane_b32 s82, v3, 2                                  // 00000000B168: D2890052 00010503
	s_lshr_b32 s61, s82, 24                                    // 00000000B170: 8F3D9852
	s_and_b32 s82, s82, 0xffffff                               // 00000000B174: 8652FF52 00FFFFFF
	s_mul_i32 s82, s82, s71                                    // 00000000B17C: 92524752
	s_mul_i32 s61, s60, s61                                    // 00000000B180: 923D3D3C
	s_add_u32 s82, s82, s61                                    // 00000000B184: 80523D52
	v_mul_lo_u32 v6, v5, s82                                   // 00000000B188: D2850006 0000A505
	v_readlane_b32 s82, v3, 3                                  // 00000000B190: D2890052 00010703
	s_lshr_b32 s61, s82, 24                                    // 00000000B198: 8F3D9852
	s_and_b32 s82, s82, 0xffffff                               // 00000000B19C: 8652FF52 00FFFFFF
	s_mul_i32 s82, s82, s71                                    // 00000000B1A4: 92524752
	s_mul_i32 s61, s60, s61                                    // 00000000B1A8: 923D3D3C
	s_add_u32 s82, s82, s61                                    // 00000000B1AC: 80523D52
	v_mul_lo_u32 v7, v4, s82                                   // 00000000B1B0: D2850007 0000A504
	v_add_u32_e32 v43, v6, v7                                  // 00000000B1B8: 68560F06
	v_readlane_b32 s82, v3, 4                                  // 00000000B1BC: D2890052 00010903
	s_lshr_b32 s61, s82, 24                                    // 00000000B1C4: 8F3D9852
	s_and_b32 s82, s82, 0xffffff                               // 00000000B1C8: 8652FF52 00FFFFFF
	s_mul_i32 s82, s82, s71                                    // 00000000B1D0: 92524752
	s_mul_i32 s61, s60, s61                                    // 00000000B1D4: 923D3D3C
	s_add_u32 s82, s82, s61                                    // 00000000B1D8: 80523D52
	v_mul_lo_u32 v6, v5, s82                                   // 00000000B1DC: D2850006 0000A505
	v_readlane_b32 s82, v3, 5                                  // 00000000B1E4: D2890052 00010B03
	s_lshr_b32 s61, s82, 24                                    // 00000000B1EC: 8F3D9852
	s_and_b32 s82, s82, 0xffffff                               // 00000000B1F0: 8652FF52 00FFFFFF
	s_mul_i32 s82, s82, s71                                    // 00000000B1F8: 92524752
	s_mul_i32 s61, s60, s61                                    // 00000000B1FC: 923D3D3C
	s_add_u32 s82, s82, s61                                    // 00000000B200: 80523D52
	v_mul_lo_u32 v7, v4, s82                                   // 00000000B204: D2850007 0000A504
	v_add_u32_e32 v44, v6, v7                                  // 00000000B20C: 68580F06
	v_readlane_b32 s82, v3, 6                                  // 00000000B210: D2890052 00010D03
	s_lshr_b32 s61, s82, 24                                    // 00000000B218: 8F3D9852
	s_and_b32 s82, s82, 0xffffff                               // 00000000B21C: 8652FF52 00FFFFFF
	s_mul_i32 s82, s82, s71                                    // 00000000B224: 92524752
	s_mul_i32 s61, s60, s61                                    // 00000000B228: 923D3D3C
	s_add_u32 s82, s82, s61                                    // 00000000B22C: 80523D52
	v_mul_lo_u32 v6, v5, s82                                   // 00000000B230: D2850006 0000A505
	v_readlane_b32 s82, v3, 7                                  // 00000000B238: D2890052 00010F03
	s_lshr_b32 s61, s82, 24                                    // 00000000B240: 8F3D9852
	s_and_b32 s82, s82, 0xffffff                               // 00000000B244: 8652FF52 00FFFFFF
	s_mul_i32 s82, s82, s71                                    // 00000000B24C: 92524752
	s_mul_i32 s61, s60, s61                                    // 00000000B250: 923D3D3C
	s_add_u32 s82, s82, s61                                    // 00000000B254: 80523D52
	v_mul_lo_u32 v7, v4, s82                                   // 00000000B258: D2850007 0000A504
	v_add_u32_e32 v45, v6, v7                                  // 00000000B260: 685A0F06
	v_readlane_b32 s82, v3, 8                                  // 00000000B264: D2890052 00011103
	s_lshr_b32 s61, s82, 24                                    // 00000000B26C: 8F3D9852
	s_and_b32 s82, s82, 0xffffff                               // 00000000B270: 8652FF52 00FFFFFF
	s_mul_i32 s82, s82, s71                                    // 00000000B278: 92524752
	s_mul_i32 s61, s60, s61                                    // 00000000B27C: 923D3D3C
	s_add_u32 s82, s82, s61                                    // 00000000B280: 80523D52
	v_mul_lo_u32 v6, v5, s82                                   // 00000000B284: D2850006 0000A505
	v_readlane_b32 s82, v3, 9                                  // 00000000B28C: D2890052 00011303
	s_lshr_b32 s61, s82, 24                                    // 00000000B294: 8F3D9852
	s_and_b32 s82, s82, 0xffffff                               // 00000000B298: 8652FF52 00FFFFFF
	s_mul_i32 s82, s82, s71                                    // 00000000B2A0: 92524752
	s_mul_i32 s61, s60, s61                                    // 00000000B2A4: 923D3D3C
	s_add_u32 s82, s82, s61                                    // 00000000B2A8: 80523D52
	v_mul_lo_u32 v7, v4, s82                                   // 00000000B2AC: D2850007 0000A504
	v_add_u32_e32 v46, v6, v7                                  // 00000000B2B4: 685C0F06
	v_readlane_b32 s82, v3, 10                                 // 00000000B2B8: D2890052 00011503
	s_lshr_b32 s61, s82, 24                                    // 00000000B2C0: 8F3D9852
	s_and_b32 s82, s82, 0xffffff                               // 00000000B2C4: 8652FF52 00FFFFFF
	s_mul_i32 s82, s82, s71                                    // 00000000B2CC: 92524752
	s_mul_i32 s61, s60, s61                                    // 00000000B2D0: 923D3D3C
	s_add_u32 s82, s82, s61                                    // 00000000B2D4: 80523D52
	v_mul_lo_u32 v6, v5, s82                                   // 00000000B2D8: D2850006 0000A505
	v_readlane_b32 s82, v3, 11                                 // 00000000B2E0: D2890052 00011703
	s_lshr_b32 s61, s82, 24                                    // 00000000B2E8: 8F3D9852
	s_and_b32 s82, s82, 0xffffff                               // 00000000B2EC: 8652FF52 00FFFFFF
	s_mul_i32 s82, s82, s71                                    // 00000000B2F4: 92524752
	s_mul_i32 s61, s60, s61                                    // 00000000B2F8: 923D3D3C
	s_add_u32 s82, s82, s61                                    // 00000000B2FC: 80523D52
	v_mul_lo_u32 v7, v4, s82                                   // 00000000B300: D2850007 0000A504
	v_add_u32_e32 v47, v6, v7                                  // 00000000B308: 685E0F06
	v_and_b32_e32 v4, 31, v0                                   // 00000000B30C: 2608009F
	v_lshrrev_b32_e32 v4, 1, v4                                // 00000000B310: 20080881
	s_cmp_eq_u32 s88, 0                                        // 00000000B314: BF068058
	s_cselect_b32 s61, 2, 4                                    // 00000000B318: 853D8482
	v_mul_lo_u32 v4, v4, s61                                   // 00000000B31C: D2850004 00007B04
	v_and_b32_e64 v5, v0, 1                                    // 00000000B324: D1130005 00010300
	v_add_u32_e32 v4, v4, v5                                   // 00000000B32C: 68080B04
	v_lshlrev_b32_e32 v4, 2, v4                                // 00000000B330: 24080882
	v_add_u32_e32 v42, v42, v4                                 // 00000000B334: 6854092A
	v_add_u32_e32 v43, v43, v4                                 // 00000000B338: 6856092B
	v_add_u32_e32 v44, v44, v4                                 // 00000000B33C: 6858092C
	v_add_u32_e32 v45, v45, v4                                 // 00000000B340: 685A092D
	v_add_u32_e32 v46, v46, v4                                 // 00000000B344: 685C092E
	v_add_u32_e32 v47, v47, v4                                 // 00000000B348: 685E092F
	s_waitcnt lgkmcnt(0)                                       // 00000000B34C: BF8CC07F
	s_barrier                                                  // 00000000B350: BF8A0000
	ds_read_b32 v52, v21                                       // 00000000B354: D86C0000 34000015
	ds_read_b32 v53, v21 offset:64                             // 00000000B35C: D86C0040 35000015
	ds_read_b32 v54, v21 offset:2176                           // 00000000B364: D86C0880 36000015
	ds_read_b32 v55, v21 offset:2240                           // 00000000B36C: D86C08C0 37000015
	ds_read_b32 v56, v21 offset:4352                           // 00000000B374: D86C1100 38000015
	ds_read_b32 v57, v21 offset:4416                           // 00000000B37C: D86C1140 39000015
	ds_read_b32 v58, v21 offset:6528                           // 00000000B384: D86C1980 3A000015
	ds_read_b32 v59, v21 offset:6592                           // 00000000B38C: D86C19C0 3B000015
	ds_read_b32 v60, v21 offset:8704                           // 00000000B394: D86C2200 3C000015
	ds_read_b32 v61, v21 offset:8768                           // 00000000B39C: D86C2240 3D000015
	ds_read_b32 v62, v21 offset:10880                          // 00000000B3A4: D86C2A80 3E000015
	ds_read_b32 v63, v21 offset:10944                          // 00000000B3AC: D86C2AC0 3F000015
	ds_read_b32 v64, v21 offset:13056                          // 00000000B3B4: D86C3300 40000015
	ds_read_b32 v65, v21 offset:13120                          // 00000000B3BC: D86C3340 41000015
	ds_read_b32 v66, v21 offset:15232                          // 00000000B3C4: D86C3B80 42000015
	ds_read_b32 v67, v21 offset:15296                          // 00000000B3CC: D86C3BC0 43000015
	ds_read_b32 v68, v21 offset:17408                          // 00000000B3D4: D86C4400 44000015
	ds_read_b32 v69, v21 offset:17472                          // 00000000B3DC: D86C4440 45000015
	ds_read_b32 v70, v21 offset:19584                          // 00000000B3E4: D86C4C80 46000015
	ds_read_b32 v71, v21 offset:19648                          // 00000000B3EC: D86C4CC0 47000015
	ds_read_b32 v72, v21 offset:21760                          // 00000000B3F4: D86C5500 48000015
	ds_read_b32 v73, v21 offset:21824                          // 00000000B3FC: D86C5540 49000015
	ds_read_b32 v74, v21 offset:23936                          // 00000000B404: D86C5D80 4A000015
	ds_read_b32 v75, v21 offset:24000                          // 00000000B40C: D86C5DC0 4B000015
	s_waitcnt lgkmcnt(0)                                       // 00000000B414: BF8CC07F
	s_mov_b32 s36, -1                                          // 00000000B418: BEA400C1
	s_mov_b32 s37, -1                                          // 00000000B41C: BEA500C1
	v_mov_b32_e32 v7, 0                                        // 00000000B420: 7E0E0280
	s_or_b32 s9, s9, 0x40000                                   // 00000000B424: 8709FF09 00040000
	s_mov_b64 exec, s[36:37]                                   // 00000000B42C: BEFE0124
	v_mov_b32_e32 v6, v42                                      // 00000000B430: 7E0C032A
	s_mov_b64 s[60:61], 0                                      // 00000000B434: BEBC0180
	v_readlane_b32 s82, v3, 0                                  // 00000000B438: D2890052 00010103
	s_and_b32 s82, s82, 0xffffff                               // 00000000B440: 8652FF52 00FFFFFF
	s_cmp_lt_u32 s82, s66                                      // 00000000B448: BF0A4252
	s_cselect_b32 s20, s36, s60                                // 00000000B44C: 85143C24
	v_readlane_b32 s82, v3, 1                                  // 00000000B450: D2890052 00010303
	s_and_b32 s82, s82, 0xffffff                               // 00000000B458: 8652FF52 00FFFFFF
	s_cmp_lt_u32 s82, s66                                      // 00000000B460: BF0A4252
	s_cselect_b32 s21, s36, s60                                // 00000000B464: 85153C24
	s_mov_b64 exec, s[20:21]                                   // 00000000B468: BEFE0114
	buffer_store_dword v52, v6, s[8:11], 0 offen               // 00000000B46C: E0701000 80023406
	buffer_store_dword v54, v6, s[8:11], 0 offen offset:128    // 00000000B474: E0701080 80023606
	buffer_store_dword v56, v6, s[8:11], 0 offen offset:256    // 00000000B47C: E0701100 80023806
	buffer_store_dword v58, v6, s[8:11], 0 offen offset:384    // 00000000B484: E0701180 80023A06
	s_mov_b64 exec, s[36:37]                                   // 00000000B48C: BEFE0124
	v_mov_b32_e32 v6, v43                                      // 00000000B490: 7E0C032B
	s_mov_b64 s[60:61], 0                                      // 00000000B494: BEBC0180
	v_readlane_b32 s82, v3, 2                                  // 00000000B498: D2890052 00010503
	s_and_b32 s82, s82, 0xffffff                               // 00000000B4A0: 8652FF52 00FFFFFF
	s_cmp_lt_u32 s82, s66                                      // 00000000B4A8: BF0A4252
	s_cselect_b32 s20, s36, s60                                // 00000000B4AC: 85143C24
	v_readlane_b32 s82, v3, 3                                  // 00000000B4B0: D2890052 00010703
	s_and_b32 s82, s82, 0xffffff                               // 00000000B4B8: 8652FF52 00FFFFFF
	s_cmp_lt_u32 s82, s66                                      // 00000000B4C0: BF0A4252
	s_cselect_b32 s21, s36, s60                                // 00000000B4C4: 85153C24
	s_mov_b64 exec, s[20:21]                                   // 00000000B4C8: BEFE0114
	buffer_store_dword v53, v6, s[8:11], 0 offen               // 00000000B4CC: E0701000 80023506
	buffer_store_dword v55, v6, s[8:11], 0 offen offset:128    // 00000000B4D4: E0701080 80023706
	buffer_store_dword v57, v6, s[8:11], 0 offen offset:256    // 00000000B4DC: E0701100 80023906
	buffer_store_dword v59, v6, s[8:11], 0 offen offset:384    // 00000000B4E4: E0701180 80023B06
	s_mov_b64 exec, s[36:37]                                   // 00000000B4EC: BEFE0124
	v_mov_b32_e32 v6, v44                                      // 00000000B4F0: 7E0C032C
	s_mov_b64 s[60:61], 0                                      // 00000000B4F4: BEBC0180
	v_readlane_b32 s82, v3, 4                                  // 00000000B4F8: D2890052 00010903
	s_and_b32 s82, s82, 0xffffff                               // 00000000B500: 8652FF52 00FFFFFF
	s_cmp_lt_u32 s82, s66                                      // 00000000B508: BF0A4252
	s_cselect_b32 s20, s36, s60                                // 00000000B50C: 85143C24
	v_readlane_b32 s82, v3, 5                                  // 00000000B510: D2890052 00010B03
	s_and_b32 s82, s82, 0xffffff                               // 00000000B518: 8652FF52 00FFFFFF
	s_cmp_lt_u32 s82, s66                                      // 00000000B520: BF0A4252
	s_cselect_b32 s21, s36, s60                                // 00000000B524: 85153C24
	s_mov_b64 exec, s[20:21]                                   // 00000000B528: BEFE0114
	buffer_store_dword v60, v6, s[8:11], 0 offen               // 00000000B52C: E0701000 80023C06
	buffer_store_dword v62, v6, s[8:11], 0 offen offset:128    // 00000000B534: E0701080 80023E06
	buffer_store_dword v64, v6, s[8:11], 0 offen offset:256    // 00000000B53C: E0701100 80024006
	buffer_store_dword v66, v6, s[8:11], 0 offen offset:384    // 00000000B544: E0701180 80024206
	s_mov_b64 exec, s[36:37]                                   // 00000000B54C: BEFE0124
	v_mov_b32_e32 v6, v45                                      // 00000000B550: 7E0C032D
	s_mov_b64 s[60:61], 0                                      // 00000000B554: BEBC0180
	v_readlane_b32 s82, v3, 6                                  // 00000000B558: D2890052 00010D03
	s_and_b32 s82, s82, 0xffffff                               // 00000000B560: 8652FF52 00FFFFFF
	s_cmp_lt_u32 s82, s66                                      // 00000000B568: BF0A4252
	s_cselect_b32 s20, s36, s60                                // 00000000B56C: 85143C24
	v_readlane_b32 s82, v3, 7                                  // 00000000B570: D2890052 00010F03
	s_and_b32 s82, s82, 0xffffff                               // 00000000B578: 8652FF52 00FFFFFF
	s_cmp_lt_u32 s82, s66                                      // 00000000B580: BF0A4252
	s_cselect_b32 s21, s36, s60                                // 00000000B584: 85153C24
	s_mov_b64 exec, s[20:21]                                   // 00000000B588: BEFE0114
	buffer_store_dword v61, v6, s[8:11], 0 offen               // 00000000B58C: E0701000 80023D06
	buffer_store_dword v63, v6, s[8:11], 0 offen offset:128    // 00000000B594: E0701080 80023F06
	buffer_store_dword v65, v6, s[8:11], 0 offen offset:256    // 00000000B59C: E0701100 80024106
	buffer_store_dword v67, v6, s[8:11], 0 offen offset:384    // 00000000B5A4: E0701180 80024306
	s_mov_b64 exec, s[36:37]                                   // 00000000B5AC: BEFE0124
	v_mov_b32_e32 v6, v46                                      // 00000000B5B0: 7E0C032E
	s_mov_b64 s[60:61], 0                                      // 00000000B5B4: BEBC0180
	v_readlane_b32 s82, v3, 8                                  // 00000000B5B8: D2890052 00011103
	s_and_b32 s82, s82, 0xffffff                               // 00000000B5C0: 8652FF52 00FFFFFF
	s_cmp_lt_u32 s82, s66                                      // 00000000B5C8: BF0A4252
	s_cselect_b32 s20, s36, s60                                // 00000000B5CC: 85143C24
	v_readlane_b32 s82, v3, 9                                  // 00000000B5D0: D2890052 00011303
	s_and_b32 s82, s82, 0xffffff                               // 00000000B5D8: 8652FF52 00FFFFFF
	s_cmp_lt_u32 s82, s66                                      // 00000000B5E0: BF0A4252
	s_cselect_b32 s21, s36, s60                                // 00000000B5E4: 85153C24
	s_mov_b64 exec, s[20:21]                                   // 00000000B5E8: BEFE0114
	buffer_store_dword v68, v6, s[8:11], 0 offen               // 00000000B5EC: E0701000 80024406
	buffer_store_dword v70, v6, s[8:11], 0 offen offset:128    // 00000000B5F4: E0701080 80024606
	buffer_store_dword v72, v6, s[8:11], 0 offen offset:256    // 00000000B5FC: E0701100 80024806
	buffer_store_dword v74, v6, s[8:11], 0 offen offset:384    // 00000000B604: E0701180 80024A06
	s_mov_b64 exec, s[36:37]                                   // 00000000B60C: BEFE0124
	v_mov_b32_e32 v6, v47                                      // 00000000B610: 7E0C032F
	s_mov_b64 s[60:61], 0                                      // 00000000B614: BEBC0180
	v_readlane_b32 s82, v3, 10                                 // 00000000B618: D2890052 00011503
	s_and_b32 s82, s82, 0xffffff                               // 00000000B620: 8652FF52 00FFFFFF
	s_cmp_lt_u32 s82, s66                                      // 00000000B628: BF0A4252
	s_cselect_b32 s20, s36, s60                                // 00000000B62C: 85143C24
	v_readlane_b32 s82, v3, 11                                 // 00000000B630: D2890052 00011703
	s_and_b32 s82, s82, 0xffffff                               // 00000000B638: 8652FF52 00FFFFFF
	s_cmp_lt_u32 s82, s66                                      // 00000000B640: BF0A4252
	s_cselect_b32 s21, s36, s60                                // 00000000B644: 85153C24
	s_mov_b64 exec, s[20:21]                                   // 00000000B648: BEFE0114
	buffer_store_dword v69, v6, s[8:11], 0 offen               // 00000000B64C: E0701000 80024506
	buffer_store_dword v71, v6, s[8:11], 0 offen offset:128    // 00000000B654: E0701080 80024706
	buffer_store_dword v73, v6, s[8:11], 0 offen offset:256    // 00000000B65C: E0701100 80024906
	buffer_store_dword v75, v6, s[8:11], 0 offen offset:384    // 00000000B664: E0701180 80024B06
	s_mov_b64 exec, s[36:37]                                   // 00000000B66C: BEFE0124
	s_branch label_272E                                        // 00000000B670: BF82040E

000000000000b674 <label_2320>:
	ds_write_b64 v20, v[52:53]                                 // 00000000B674: D89A0000 00003414
	ds_write_b64 v20, v[56:57] offset:8704                     // 00000000B67C: D89A2200 00003814
	ds_write_b64 v20, v[60:61] offset:17408                    // 00000000B684: D89A4400 00003C14
	ds_write_b64 v20, v[64:65] offset:2176                     // 00000000B68C: D89A0880 00004014
	ds_write_b64 v20, v[68:69] offset:10880                    // 00000000B694: D89A2A80 00004414
	ds_write_b64 v20, v[72:73] offset:19584                    // 00000000B69C: D89A4C80 00004814
	ds_write_b64 v20, v[76:77] offset:4352                     // 00000000B6A4: D89A1100 00004C14
	ds_write_b64 v20, v[80:81] offset:13056                    // 00000000B6AC: D89A3300 00005014
	ds_write_b64 v20, v[84:85] offset:21760                    // 00000000B6B4: D89A5500 00005414
	ds_write_b64 v20, v[88:89] offset:6528                     // 00000000B6BC: D89A1980 00005814
	ds_write_b64 v20, v[92:93] offset:15232                    // 00000000B6C4: D89A3B80 00005C14
	ds_write_b64 v20, v[96:97] offset:23936                    // 00000000B6CC: D89A5D80 00006014
	v_lshrrev_b32_e32 v4, 5, v0                                // 00000000B6D4: 20080085
	v_xor_b32_e32 v5, 1, v4                                    // 00000000B6D8: 2A0A0881
	s_mul_i32 s60, s65, 2                                      // 00000000B6DC: 923C8241
	s_cmp_eq_u32 s88, 0                                        // 00000000B6E0: BF068058
	s_cselect_b32 s61, 1, 4                                    // 00000000B6E4: 853D8481
	s_mul_i32 s60, s61, s60                                    // 00000000B6E8: 923C3C3D
	v_readlane_b32 s82, v3, 0                                  // 00000000B6EC: D2890052 00010103
	s_lshr_b32 s61, s82, 24                                    // 00000000B6F4: 8F3D9852
	s_and_b32 s82, s82, 0xffffff                               // 00000000B6F8: 8652FF52 00FFFFFF
	s_mul_i32 s82, s82, s71                                    // 00000000B700: 92524752
	s_mul_i32 s61, s60, s61                                    // 00000000B704: 923D3D3C
	s_add_u32 s82, s82, s61                                    // 00000000B708: 80523D52
	v_mul_lo_u32 v6, v5, s82                                   // 00000000B70C: D2850006 0000A505
	v_readlane_b32 s82, v3, 1                                  // 00000000B714: D2890052 00010303
	s_lshr_b32 s61, s82, 24                                    // 00000000B71C: 8F3D9852
	s_and_b32 s82, s82, 0xffffff                               // 00000000B720: 8652FF52 00FFFFFF
	s_mul_i32 s82, s82, s71                                    // 00000000B728: 92524752
	s_mul_i32 s61, s60, s61                                    // 00000000B72C: 923D3D3C
	s_add_u32 s82, s82, s61                                    // 00000000B730: 80523D52
	v_mul_lo_u32 v7, v4, s82                                   // 00000000B734: D2850007 0000A504
	v_add_u32_e32 v42, v6, v7                                  // 00000000B73C: 68540F06
	v_readlane_b32 s82, v3, 2                                  // 00000000B740: D2890052 00010503
	s_lshr_b32 s61, s82, 24                                    // 00000000B748: 8F3D9852
	s_and_b32 s82, s82, 0xffffff                               // 00000000B74C: 8652FF52 00FFFFFF
	s_mul_i32 s82, s82, s71                                    // 00000000B754: 92524752
	s_mul_i32 s61, s60, s61                                    // 00000000B758: 923D3D3C
	s_add_u32 s82, s82, s61                                    // 00000000B75C: 80523D52
	v_mul_lo_u32 v6, v5, s82                                   // 00000000B760: D2850006 0000A505
	v_readlane_b32 s82, v3, 3                                  // 00000000B768: D2890052 00010703
	s_lshr_b32 s61, s82, 24                                    // 00000000B770: 8F3D9852
	s_and_b32 s82, s82, 0xffffff                               // 00000000B774: 8652FF52 00FFFFFF
	s_mul_i32 s82, s82, s71                                    // 00000000B77C: 92524752
	s_mul_i32 s61, s60, s61                                    // 00000000B780: 923D3D3C
	s_add_u32 s82, s82, s61                                    // 00000000B784: 80523D52
	v_mul_lo_u32 v7, v4, s82                                   // 00000000B788: D2850007 0000A504
	v_add_u32_e32 v43, v6, v7                                  // 00000000B790: 68560F06
	v_readlane_b32 s82, v3, 4                                  // 00000000B794: D2890052 00010903
	s_lshr_b32 s61, s82, 24                                    // 00000000B79C: 8F3D9852
	s_and_b32 s82, s82, 0xffffff                               // 00000000B7A0: 8652FF52 00FFFFFF
	s_mul_i32 s82, s82, s71                                    // 00000000B7A8: 92524752
	s_mul_i32 s61, s60, s61                                    // 00000000B7AC: 923D3D3C
	s_add_u32 s82, s82, s61                                    // 00000000B7B0: 80523D52
	v_mul_lo_u32 v6, v5, s82                                   // 00000000B7B4: D2850006 0000A505
	v_readlane_b32 s82, v3, 5                                  // 00000000B7BC: D2890052 00010B03
	s_lshr_b32 s61, s82, 24                                    // 00000000B7C4: 8F3D9852
	s_and_b32 s82, s82, 0xffffff                               // 00000000B7C8: 8652FF52 00FFFFFF
	s_mul_i32 s82, s82, s71                                    // 00000000B7D0: 92524752
	s_mul_i32 s61, s60, s61                                    // 00000000B7D4: 923D3D3C
	s_add_u32 s82, s82, s61                                    // 00000000B7D8: 80523D52
	v_mul_lo_u32 v7, v4, s82                                   // 00000000B7DC: D2850007 0000A504
	v_add_u32_e32 v44, v6, v7                                  // 00000000B7E4: 68580F06
	v_readlane_b32 s82, v3, 6                                  // 00000000B7E8: D2890052 00010D03
	s_lshr_b32 s61, s82, 24                                    // 00000000B7F0: 8F3D9852
	s_and_b32 s82, s82, 0xffffff                               // 00000000B7F4: 8652FF52 00FFFFFF
	s_mul_i32 s82, s82, s71                                    // 00000000B7FC: 92524752
	s_mul_i32 s61, s60, s61                                    // 00000000B800: 923D3D3C
	s_add_u32 s82, s82, s61                                    // 00000000B804: 80523D52
	v_mul_lo_u32 v6, v5, s82                                   // 00000000B808: D2850006 0000A505
	v_readlane_b32 s82, v3, 7                                  // 00000000B810: D2890052 00010F03
	s_lshr_b32 s61, s82, 24                                    // 00000000B818: 8F3D9852
	s_and_b32 s82, s82, 0xffffff                               // 00000000B81C: 8652FF52 00FFFFFF
	s_mul_i32 s82, s82, s71                                    // 00000000B824: 92524752
	s_mul_i32 s61, s60, s61                                    // 00000000B828: 923D3D3C
	s_add_u32 s82, s82, s61                                    // 00000000B82C: 80523D52
	v_mul_lo_u32 v7, v4, s82                                   // 00000000B830: D2850007 0000A504
	v_add_u32_e32 v45, v6, v7                                  // 00000000B838: 685A0F06
	v_readlane_b32 s82, v3, 8                                  // 00000000B83C: D2890052 00011103
	s_lshr_b32 s61, s82, 24                                    // 00000000B844: 8F3D9852
	s_and_b32 s82, s82, 0xffffff                               // 00000000B848: 8652FF52 00FFFFFF
	s_mul_i32 s82, s82, s71                                    // 00000000B850: 92524752
	s_mul_i32 s61, s60, s61                                    // 00000000B854: 923D3D3C
	s_add_u32 s82, s82, s61                                    // 00000000B858: 80523D52
	v_mul_lo_u32 v6, v5, s82                                   // 00000000B85C: D2850006 0000A505
	v_readlane_b32 s82, v3, 9                                  // 00000000B864: D2890052 00011303
	s_lshr_b32 s61, s82, 24                                    // 00000000B86C: 8F3D9852
	s_and_b32 s82, s82, 0xffffff                               // 00000000B870: 8652FF52 00FFFFFF
	s_mul_i32 s82, s82, s71                                    // 00000000B878: 92524752
	s_mul_i32 s61, s60, s61                                    // 00000000B87C: 923D3D3C
	s_add_u32 s82, s82, s61                                    // 00000000B880: 80523D52
	v_mul_lo_u32 v7, v4, s82                                   // 00000000B884: D2850007 0000A504
	v_add_u32_e32 v46, v6, v7                                  // 00000000B88C: 685C0F06
	v_readlane_b32 s82, v3, 10                                 // 00000000B890: D2890052 00011503
	s_lshr_b32 s61, s82, 24                                    // 00000000B898: 8F3D9852
	s_and_b32 s82, s82, 0xffffff                               // 00000000B89C: 8652FF52 00FFFFFF
	s_mul_i32 s82, s82, s71                                    // 00000000B8A4: 92524752
	s_mul_i32 s61, s60, s61                                    // 00000000B8A8: 923D3D3C
	s_add_u32 s82, s82, s61                                    // 00000000B8AC: 80523D52
	v_mul_lo_u32 v6, v5, s82                                   // 00000000B8B0: D2850006 0000A505
	v_readlane_b32 s82, v3, 11                                 // 00000000B8B8: D2890052 00011703
	s_lshr_b32 s61, s82, 24                                    // 00000000B8C0: 8F3D9852
	s_and_b32 s82, s82, 0xffffff                               // 00000000B8C4: 8652FF52 00FFFFFF
	s_mul_i32 s82, s82, s71                                    // 00000000B8CC: 92524752
	s_mul_i32 s61, s60, s61                                    // 00000000B8D0: 923D3D3C
	s_add_u32 s82, s82, s61                                    // 00000000B8D4: 80523D52
	v_mul_lo_u32 v7, v4, s82                                   // 00000000B8D8: D2850007 0000A504
	v_add_u32_e32 v47, v6, v7                                  // 00000000B8E0: 685E0F06
	v_and_b32_e32 v4, 31, v0                                   // 00000000B8E4: 2608009F
	v_lshrrev_b32_e32 v4, 1, v4                                // 00000000B8E8: 20080881
	s_cmp_eq_u32 s88, 0                                        // 00000000B8EC: BF068058
	s_cselect_b32 s61, 2, 4                                    // 00000000B8F0: 853D8482
	v_mul_lo_u32 v4, v4, s61                                   // 00000000B8F4: D2850004 00007B04
	v_and_b32_e64 v5, v0, 1                                    // 00000000B8FC: D1130005 00010300
	v_add_u32_e32 v4, v4, v5                                   // 00000000B904: 68080B04
	v_lshlrev_b32_e32 v4, 2, v4                                // 00000000B908: 24080882
	v_add_u32_e32 v42, v42, v4                                 // 00000000B90C: 6854092A
	v_add_u32_e32 v43, v43, v4                                 // 00000000B910: 6856092B
	v_add_u32_e32 v44, v44, v4                                 // 00000000B914: 6858092C
	v_add_u32_e32 v45, v45, v4                                 // 00000000B918: 685A092D
	v_add_u32_e32 v46, v46, v4                                 // 00000000B91C: 685C092E
	v_add_u32_e32 v47, v47, v4                                 // 00000000B920: 685E092F
	s_waitcnt lgkmcnt(0)                                       // 00000000B924: BF8CC07F
	s_barrier                                                  // 00000000B928: BF8A0000
	ds_read_b32 v52, v21                                       // 00000000B92C: D86C0000 34000015
	ds_read_b32 v53, v21 offset:64                             // 00000000B934: D86C0040 35000015
	ds_read_b32 v56, v21 offset:2176                           // 00000000B93C: D86C0880 38000015
	ds_read_b32 v57, v21 offset:2240                           // 00000000B944: D86C08C0 39000015
	ds_read_b32 v60, v21 offset:4352                           // 00000000B94C: D86C1100 3C000015
	ds_read_b32 v61, v21 offset:4416                           // 00000000B954: D86C1140 3D000015
	ds_read_b32 v64, v21 offset:6528                           // 00000000B95C: D86C1980 40000015
	ds_read_b32 v65, v21 offset:6592                           // 00000000B964: D86C19C0 41000015
	ds_read_b32 v68, v21 offset:8704                           // 00000000B96C: D86C2200 44000015
	ds_read_b32 v69, v21 offset:8768                           // 00000000B974: D86C2240 45000015
	ds_read_b32 v72, v21 offset:10880                          // 00000000B97C: D86C2A80 48000015
	ds_read_b32 v73, v21 offset:10944                          // 00000000B984: D86C2AC0 49000015
	ds_read_b32 v76, v21 offset:13056                          // 00000000B98C: D86C3300 4C000015
	ds_read_b32 v77, v21 offset:13120                          // 00000000B994: D86C3340 4D000015
	ds_read_b32 v80, v21 offset:15232                          // 00000000B99C: D86C3B80 50000015
	ds_read_b32 v81, v21 offset:15296                          // 00000000B9A4: D86C3BC0 51000015
	ds_read_b32 v84, v21 offset:17408                          // 00000000B9AC: D86C4400 54000015
	ds_read_b32 v85, v21 offset:17472                          // 00000000B9B4: D86C4440 55000015
	ds_read_b32 v88, v21 offset:19584                          // 00000000B9BC: D86C4C80 58000015
	ds_read_b32 v89, v21 offset:19648                          // 00000000B9C4: D86C4CC0 59000015
	ds_read_b32 v92, v21 offset:21760                          // 00000000B9CC: D86C5500 5C000015
	ds_read_b32 v93, v21 offset:21824                          // 00000000B9D4: D86C5540 5D000015
	ds_read_b32 v96, v21 offset:23936                          // 00000000B9DC: D86C5D80 60000015
	ds_read_b32 v97, v21 offset:24000                          // 00000000B9E4: D86C5DC0 61000015
	s_waitcnt lgkmcnt(0)                                       // 00000000B9EC: BF8CC07F
	s_mov_b32 s36, -1                                          // 00000000B9F0: BEA400C1
	s_mov_b32 s37, -1                                          // 00000000B9F4: BEA500C1
	v_mov_b32_e32 v7, 0                                        // 00000000B9F8: 7E0E0280
	s_mov_b64 exec, s[36:37]                                   // 00000000B9FC: BEFE0124
	v_mov_b32_e32 v6, v42                                      // 00000000BA00: 7E0C032A
	s_mov_b64 s[60:61], 0                                      // 00000000BA04: BEBC0180
	v_readlane_b32 s82, v3, 0                                  // 00000000BA08: D2890052 00010103
	s_and_b32 s82, s82, 0xffffff                               // 00000000BA10: 8652FF52 00FFFFFF
	s_cmp_lt_u32 s82, s66                                      // 00000000BA18: BF0A4252
	s_cselect_b32 s20, s36, s60                                // 00000000BA1C: 85143C24
	v_readlane_b32 s82, v3, 1                                  // 00000000BA20: D2890052 00010303
	s_and_b32 s82, s82, 0xffffff                               // 00000000BA28: 8652FF52 00FFFFFF
	s_cmp_lt_u32 s82, s66                                      // 00000000BA30: BF0A4252
	s_cselect_b32 s21, s36, s60                                // 00000000BA34: 85153C24
	s_mov_b64 exec, s[20:21]                                   // 00000000BA38: BEFE0114
	global_atomic_add_f32 v6, v52, s[8:9]                      // 00000000BA3C: DD348000 00083406
	global_atomic_add_f32 v6, v56, s[8:9] offset:256           // 00000000BA44: DD348100 00083806
	global_atomic_add_f32 v6, v60, s[8:9] offset:512           // 00000000BA4C: DD348200 00083C06
	global_atomic_add_f32 v6, v64, s[8:9] offset:768           // 00000000BA54: DD348300 00084006
	s_mov_b64 exec, s[36:37]                                   // 00000000BA5C: BEFE0124
	v_mov_b32_e32 v6, v43                                      // 00000000BA60: 7E0C032B
	s_mov_b64 s[60:61], 0                                      // 00000000BA64: BEBC0180
	v_readlane_b32 s82, v3, 2                                  // 00000000BA68: D2890052 00010503
	s_and_b32 s82, s82, 0xffffff                               // 00000000BA70: 8652FF52 00FFFFFF
	s_cmp_lt_u32 s82, s66                                      // 00000000BA78: BF0A4252
	s_cselect_b32 s20, s36, s60                                // 00000000BA7C: 85143C24
	v_readlane_b32 s82, v3, 3                                  // 00000000BA80: D2890052 00010703
	s_and_b32 s82, s82, 0xffffff                               // 00000000BA88: 8652FF52 00FFFFFF
	s_cmp_lt_u32 s82, s66                                      // 00000000BA90: BF0A4252
	s_cselect_b32 s21, s36, s60                                // 00000000BA94: 85153C24
	s_mov_b64 exec, s[20:21]                                   // 00000000BA98: BEFE0114
	global_atomic_add_f32 v6, v53, s[8:9]                      // 00000000BA9C: DD348000 00083506
	global_atomic_add_f32 v6, v57, s[8:9] offset:256           // 00000000BAA4: DD348100 00083906
	global_atomic_add_f32 v6, v61, s[8:9] offset:512           // 00000000BAAC: DD348200 00083D06
	global_atomic_add_f32 v6, v65, s[8:9] offset:768           // 00000000BAB4: DD348300 00084106
	s_mov_b64 exec, s[36:37]                                   // 00000000BABC: BEFE0124
	v_mov_b32_e32 v6, v44                                      // 00000000BAC0: 7E0C032C
	s_mov_b64 s[60:61], 0                                      // 00000000BAC4: BEBC0180
	v_readlane_b32 s82, v3, 4                                  // 00000000BAC8: D2890052 00010903
	s_and_b32 s82, s82, 0xffffff                               // 00000000BAD0: 8652FF52 00FFFFFF
	s_cmp_lt_u32 s82, s66                                      // 00000000BAD8: BF0A4252
	s_cselect_b32 s20, s36, s60                                // 00000000BADC: 85143C24
	v_readlane_b32 s82, v3, 5                                  // 00000000BAE0: D2890052 00010B03
	s_and_b32 s82, s82, 0xffffff                               // 00000000BAE8: 8652FF52 00FFFFFF
	s_cmp_lt_u32 s82, s66                                      // 00000000BAF0: BF0A4252
	s_cselect_b32 s21, s36, s60                                // 00000000BAF4: 85153C24
	s_mov_b64 exec, s[20:21]                                   // 00000000BAF8: BEFE0114
	global_atomic_add_f32 v6, v68, s[8:9]                      // 00000000BAFC: DD348000 00084406
	global_atomic_add_f32 v6, v72, s[8:9] offset:256           // 00000000BB04: DD348100 00084806
	global_atomic_add_f32 v6, v76, s[8:9] offset:512           // 00000000BB0C: DD348200 00084C06
	global_atomic_add_f32 v6, v80, s[8:9] offset:768           // 00000000BB14: DD348300 00085006
	s_mov_b64 exec, s[36:37]                                   // 00000000BB1C: BEFE0124
	v_mov_b32_e32 v6, v45                                      // 00000000BB20: 7E0C032D
	s_mov_b64 s[60:61], 0                                      // 00000000BB24: BEBC0180
	v_readlane_b32 s82, v3, 6                                  // 00000000BB28: D2890052 00010D03
	s_and_b32 s82, s82, 0xffffff                               // 00000000BB30: 8652FF52 00FFFFFF
	s_cmp_lt_u32 s82, s66                                      // 00000000BB38: BF0A4252
	s_cselect_b32 s20, s36, s60                                // 00000000BB3C: 85143C24
	v_readlane_b32 s82, v3, 7                                  // 00000000BB40: D2890052 00010F03
	s_and_b32 s82, s82, 0xffffff                               // 00000000BB48: 8652FF52 00FFFFFF
	s_cmp_lt_u32 s82, s66                                      // 00000000BB50: BF0A4252
	s_cselect_b32 s21, s36, s60                                // 00000000BB54: 85153C24
	s_mov_b64 exec, s[20:21]                                   // 00000000BB58: BEFE0114
	global_atomic_add_f32 v6, v69, s[8:9]                      // 00000000BB5C: DD348000 00084506
	global_atomic_add_f32 v6, v73, s[8:9] offset:256           // 00000000BB64: DD348100 00084906
	global_atomic_add_f32 v6, v77, s[8:9] offset:512           // 00000000BB6C: DD348200 00084D06
	global_atomic_add_f32 v6, v81, s[8:9] offset:768           // 00000000BB74: DD348300 00085106
	s_mov_b64 exec, s[36:37]                                   // 00000000BB7C: BEFE0124
	v_mov_b32_e32 v6, v46                                      // 00000000BB80: 7E0C032E
	s_mov_b64 s[60:61], 0                                      // 00000000BB84: BEBC0180
	v_readlane_b32 s82, v3, 8                                  // 00000000BB88: D2890052 00011103
	s_and_b32 s82, s82, 0xffffff                               // 00000000BB90: 8652FF52 00FFFFFF
	s_cmp_lt_u32 s82, s66                                      // 00000000BB98: BF0A4252
	s_cselect_b32 s20, s36, s60                                // 00000000BB9C: 85143C24
	v_readlane_b32 s82, v3, 9                                  // 00000000BBA0: D2890052 00011303
	s_and_b32 s82, s82, 0xffffff                               // 00000000BBA8: 8652FF52 00FFFFFF
	s_cmp_lt_u32 s82, s66                                      // 00000000BBB0: BF0A4252
	s_cselect_b32 s21, s36, s60                                // 00000000BBB4: 85153C24
	s_mov_b64 exec, s[20:21]                                   // 00000000BBB8: BEFE0114
	global_atomic_add_f32 v6, v84, s[8:9]                      // 00000000BBBC: DD348000 00085406
	global_atomic_add_f32 v6, v88, s[8:9] offset:256           // 00000000BBC4: DD348100 00085806
	global_atomic_add_f32 v6, v92, s[8:9] offset:512           // 00000000BBCC: DD348200 00085C06
	global_atomic_add_f32 v6, v96, s[8:9] offset:768           // 00000000BBD4: DD348300 00086006
	s_mov_b64 exec, s[36:37]                                   // 00000000BBDC: BEFE0124
	v_mov_b32_e32 v6, v47                                      // 00000000BBE0: 7E0C032F
	s_mov_b64 s[60:61], 0                                      // 00000000BBE4: BEBC0180
	v_readlane_b32 s82, v3, 10                                 // 00000000BBE8: D2890052 00011503
	s_and_b32 s82, s82, 0xffffff                               // 00000000BBF0: 8652FF52 00FFFFFF
	s_cmp_lt_u32 s82, s66                                      // 00000000BBF8: BF0A4252
	s_cselect_b32 s20, s36, s60                                // 00000000BBFC: 85143C24
	v_readlane_b32 s82, v3, 11                                 // 00000000BC00: D2890052 00011703
	s_and_b32 s82, s82, 0xffffff                               // 00000000BC08: 8652FF52 00FFFFFF
	s_cmp_lt_u32 s82, s66                                      // 00000000BC10: BF0A4252
	s_cselect_b32 s21, s36, s60                                // 00000000BC14: 85153C24
	s_mov_b64 exec, s[20:21]                                   // 00000000BC18: BEFE0114
	global_atomic_add_f32 v6, v85, s[8:9]                      // 00000000BC1C: DD348000 00085506
	global_atomic_add_f32 v6, v89, s[8:9] offset:256           // 00000000BC24: DD348100 00085906
	global_atomic_add_f32 v6, v93, s[8:9] offset:512           // 00000000BC2C: DD348200 00085D06
	global_atomic_add_f32 v6, v97, s[8:9] offset:768           // 00000000BC34: DD348300 00086106
	s_mov_b64 exec, s[36:37]                                   // 00000000BC3C: BEFE0124
	ds_write_b64 v20, v[54:55]                                 // 00000000BC40: D89A0000 00003614
	ds_write_b64 v20, v[58:59] offset:8704                     // 00000000BC48: D89A2200 00003A14
	ds_write_b64 v20, v[62:63] offset:17408                    // 00000000BC50: D89A4400 00003E14
	ds_write_b64 v20, v[66:67] offset:2176                     // 00000000BC58: D89A0880 00004214
	ds_write_b64 v20, v[70:71] offset:10880                    // 00000000BC60: D89A2A80 00004614
	ds_write_b64 v20, v[74:75] offset:19584                    // 00000000BC68: D89A4C80 00004A14
	ds_write_b64 v20, v[78:79] offset:4352                     // 00000000BC70: D89A1100 00004E14
	ds_write_b64 v20, v[82:83] offset:13056                    // 00000000BC78: D89A3300 00005214
	ds_write_b64 v20, v[86:87] offset:21760                    // 00000000BC80: D89A5500 00005614
	ds_write_b64 v20, v[90:91] offset:6528                     // 00000000BC88: D89A1980 00005A14
	ds_write_b64 v20, v[94:95] offset:15232                    // 00000000BC90: D89A3B80 00005E14
	ds_write_b64 v20, v[98:99] offset:23936                    // 00000000BC98: D89A5D80 00006214
	s_waitcnt lgkmcnt(0)                                       // 00000000BCA0: BF8CC07F
	s_barrier                                                  // 00000000BCA4: BF8A0000
	ds_read_b32 v54, v21                                       // 00000000BCA8: D86C0000 36000015
	ds_read_b32 v55, v21 offset:64                             // 00000000BCB0: D86C0040 37000015
	ds_read_b32 v58, v21 offset:2176                           // 00000000BCB8: D86C0880 3A000015
	ds_read_b32 v59, v21 offset:2240                           // 00000000BCC0: D86C08C0 3B000015
	ds_read_b32 v62, v21 offset:4352                           // 00000000BCC8: D86C1100 3E000015
	ds_read_b32 v63, v21 offset:4416                           // 00000000BCD0: D86C1140 3F000015
	ds_read_b32 v66, v21 offset:6528                           // 00000000BCD8: D86C1980 42000015
	ds_read_b32 v67, v21 offset:6592                           // 00000000BCE0: D86C19C0 43000015
	ds_read_b32 v70, v21 offset:8704                           // 00000000BCE8: D86C2200 46000015
	ds_read_b32 v71, v21 offset:8768                           // 00000000BCF0: D86C2240 47000015
	ds_read_b32 v74, v21 offset:10880                          // 00000000BCF8: D86C2A80 4A000015
	ds_read_b32 v75, v21 offset:10944                          // 00000000BD00: D86C2AC0 4B000015
	ds_read_b32 v78, v21 offset:13056                          // 00000000BD08: D86C3300 4E000015
	ds_read_b32 v79, v21 offset:13120                          // 00000000BD10: D86C3340 4F000015
	ds_read_b32 v82, v21 offset:15232                          // 00000000BD18: D86C3B80 52000015
	ds_read_b32 v83, v21 offset:15296                          // 00000000BD20: D86C3BC0 53000015
	ds_read_b32 v86, v21 offset:17408                          // 00000000BD28: D86C4400 56000015
	ds_read_b32 v87, v21 offset:17472                          // 00000000BD30: D86C4440 57000015
	ds_read_b32 v90, v21 offset:19584                          // 00000000BD38: D86C4C80 5A000015
	ds_read_b32 v91, v21 offset:19648                          // 00000000BD40: D86C4CC0 5B000015
	ds_read_b32 v94, v21 offset:21760                          // 00000000BD48: D86C5500 5E000015
	ds_read_b32 v95, v21 offset:21824                          // 00000000BD50: D86C5540 5F000015
	ds_read_b32 v98, v21 offset:23936                          // 00000000BD58: D86C5D80 62000015
	ds_read_b32 v99, v21 offset:24000                          // 00000000BD60: D86C5DC0 63000015
	s_waitcnt lgkmcnt(0)                                       // 00000000BD68: BF8CC07F
	v_mov_b32_e32 v7, 0                                        // 00000000BD6C: 7E0E0280
	s_mov_b64 exec, s[36:37]                                   // 00000000BD70: BEFE0124
	v_mov_b32_e32 v6, v42                                      // 00000000BD74: 7E0C032A
	s_mov_b64 s[60:61], 0                                      // 00000000BD78: BEBC0180
	v_readlane_b32 s82, v3, 0                                  // 00000000BD7C: D2890052 00010103
	s_and_b32 s82, s82, 0xffffff                               // 00000000BD84: 8652FF52 00FFFFFF
	s_cmp_lt_u32 s82, s66                                      // 00000000BD8C: BF0A4252
	s_cselect_b32 s20, s36, s60                                // 00000000BD90: 85143C24
	v_readlane_b32 s82, v3, 1                                  // 00000000BD94: D2890052 00010303
	s_and_b32 s82, s82, 0xffffff                               // 00000000BD9C: 8652FF52 00FFFFFF
	s_cmp_lt_u32 s82, s66                                      // 00000000BDA4: BF0A4252
	s_cselect_b32 s21, s36, s60                                // 00000000BDA8: 85153C24
	s_mov_b64 exec, s[20:21]                                   // 00000000BDAC: BEFE0114
	global_atomic_add_f32 v6, v54, s[8:9] offset:8             // 00000000BDB0: DD348008 00083606
	global_atomic_add_f32 v6, v58, s[8:9] offset:264           // 00000000BDB8: DD348108 00083A06
	global_atomic_add_f32 v6, v62, s[8:9] offset:520           // 00000000BDC0: DD348208 00083E06
	global_atomic_add_f32 v6, v66, s[8:9] offset:776           // 00000000BDC8: DD348308 00084206
	s_mov_b64 exec, s[36:37]                                   // 00000000BDD0: BEFE0124
	v_mov_b32_e32 v6, v43                                      // 00000000BDD4: 7E0C032B
	s_mov_b64 s[60:61], 0                                      // 00000000BDD8: BEBC0180
	v_readlane_b32 s82, v3, 2                                  // 00000000BDDC: D2890052 00010503
	s_and_b32 s82, s82, 0xffffff                               // 00000000BDE4: 8652FF52 00FFFFFF
	s_cmp_lt_u32 s82, s66                                      // 00000000BDEC: BF0A4252
	s_cselect_b32 s20, s36, s60                                // 00000000BDF0: 85143C24
	v_readlane_b32 s82, v3, 3                                  // 00000000BDF4: D2890052 00010703
	s_and_b32 s82, s82, 0xffffff                               // 00000000BDFC: 8652FF52 00FFFFFF
	s_cmp_lt_u32 s82, s66                                      // 00000000BE04: BF0A4252
	s_cselect_b32 s21, s36, s60                                // 00000000BE08: 85153C24
	s_mov_b64 exec, s[20:21]                                   // 00000000BE0C: BEFE0114
	global_atomic_add_f32 v6, v55, s[8:9] offset:8             // 00000000BE10: DD348008 00083706
	global_atomic_add_f32 v6, v59, s[8:9] offset:264           // 00000000BE18: DD348108 00083B06
	global_atomic_add_f32 v6, v63, s[8:9] offset:520           // 00000000BE20: DD348208 00083F06
	global_atomic_add_f32 v6, v67, s[8:9] offset:776           // 00000000BE28: DD348308 00084306
	s_mov_b64 exec, s[36:37]                                   // 00000000BE30: BEFE0124
	v_mov_b32_e32 v6, v44                                      // 00000000BE34: 7E0C032C
	s_mov_b64 s[60:61], 0                                      // 00000000BE38: BEBC0180
	v_readlane_b32 s82, v3, 4                                  // 00000000BE3C: D2890052 00010903
	s_and_b32 s82, s82, 0xffffff                               // 00000000BE44: 8652FF52 00FFFFFF
	s_cmp_lt_u32 s82, s66                                      // 00000000BE4C: BF0A4252
	s_cselect_b32 s20, s36, s60                                // 00000000BE50: 85143C24
	v_readlane_b32 s82, v3, 5                                  // 00000000BE54: D2890052 00010B03
	s_and_b32 s82, s82, 0xffffff                               // 00000000BE5C: 8652FF52 00FFFFFF
	s_cmp_lt_u32 s82, s66                                      // 00000000BE64: BF0A4252
	s_cselect_b32 s21, s36, s60                                // 00000000BE68: 85153C24
	s_mov_b64 exec, s[20:21]                                   // 00000000BE6C: BEFE0114
	global_atomic_add_f32 v6, v70, s[8:9] offset:8             // 00000000BE70: DD348008 00084606
	global_atomic_add_f32 v6, v74, s[8:9] offset:264           // 00000000BE78: DD348108 00084A06
	global_atomic_add_f32 v6, v78, s[8:9] offset:520           // 00000000BE80: DD348208 00084E06
	global_atomic_add_f32 v6, v82, s[8:9] offset:776           // 00000000BE88: DD348308 00085206
	s_mov_b64 exec, s[36:37]                                   // 00000000BE90: BEFE0124
	v_mov_b32_e32 v6, v45                                      // 00000000BE94: 7E0C032D
	s_mov_b64 s[60:61], 0                                      // 00000000BE98: BEBC0180
	v_readlane_b32 s82, v3, 6                                  // 00000000BE9C: D2890052 00010D03
	s_and_b32 s82, s82, 0xffffff                               // 00000000BEA4: 8652FF52 00FFFFFF
	s_cmp_lt_u32 s82, s66                                      // 00000000BEAC: BF0A4252
	s_cselect_b32 s20, s36, s60                                // 00000000BEB0: 85143C24
	v_readlane_b32 s82, v3, 7                                  // 00000000BEB4: D2890052 00010F03
	s_and_b32 s82, s82, 0xffffff                               // 00000000BEBC: 8652FF52 00FFFFFF
	s_cmp_lt_u32 s82, s66                                      // 00000000BEC4: BF0A4252
	s_cselect_b32 s21, s36, s60                                // 00000000BEC8: 85153C24
	s_mov_b64 exec, s[20:21]                                   // 00000000BECC: BEFE0114
	global_atomic_add_f32 v6, v71, s[8:9] offset:8             // 00000000BED0: DD348008 00084706
	global_atomic_add_f32 v6, v75, s[8:9] offset:264           // 00000000BED8: DD348108 00084B06
	global_atomic_add_f32 v6, v79, s[8:9] offset:520           // 00000000BEE0: DD348208 00084F06
	global_atomic_add_f32 v6, v83, s[8:9] offset:776           // 00000000BEE8: DD348308 00085306
	s_mov_b64 exec, s[36:37]                                   // 00000000BEF0: BEFE0124
	v_mov_b32_e32 v6, v46                                      // 00000000BEF4: 7E0C032E
	s_mov_b64 s[60:61], 0                                      // 00000000BEF8: BEBC0180
	v_readlane_b32 s82, v3, 8                                  // 00000000BEFC: D2890052 00011103
	s_and_b32 s82, s82, 0xffffff                               // 00000000BF04: 8652FF52 00FFFFFF
	s_cmp_lt_u32 s82, s66                                      // 00000000BF0C: BF0A4252
	s_cselect_b32 s20, s36, s60                                // 00000000BF10: 85143C24
	v_readlane_b32 s82, v3, 9                                  // 00000000BF14: D2890052 00011303
	s_and_b32 s82, s82, 0xffffff                               // 00000000BF1C: 8652FF52 00FFFFFF
	s_cmp_lt_u32 s82, s66                                      // 00000000BF24: BF0A4252
	s_cselect_b32 s21, s36, s60                                // 00000000BF28: 85153C24
	s_mov_b64 exec, s[20:21]                                   // 00000000BF2C: BEFE0114
	global_atomic_add_f32 v6, v86, s[8:9] offset:8             // 00000000BF30: DD348008 00085606
	global_atomic_add_f32 v6, v90, s[8:9] offset:264           // 00000000BF38: DD348108 00085A06
	global_atomic_add_f32 v6, v94, s[8:9] offset:520           // 00000000BF40: DD348208 00085E06
	global_atomic_add_f32 v6, v98, s[8:9] offset:776           // 00000000BF48: DD348308 00086206
	s_mov_b64 exec, s[36:37]                                   // 00000000BF50: BEFE0124
	v_mov_b32_e32 v6, v47                                      // 00000000BF54: 7E0C032F
	s_mov_b64 s[60:61], 0                                      // 00000000BF58: BEBC0180
	v_readlane_b32 s82, v3, 10                                 // 00000000BF5C: D2890052 00011503
	s_and_b32 s82, s82, 0xffffff                               // 00000000BF64: 8652FF52 00FFFFFF
	s_cmp_lt_u32 s82, s66                                      // 00000000BF6C: BF0A4252
	s_cselect_b32 s20, s36, s60                                // 00000000BF70: 85143C24
	v_readlane_b32 s82, v3, 11                                 // 00000000BF74: D2890052 00011703
	s_and_b32 s82, s82, 0xffffff                               // 00000000BF7C: 8652FF52 00FFFFFF
	s_cmp_lt_u32 s82, s66                                      // 00000000BF84: BF0A4252
	s_cselect_b32 s21, s36, s60                                // 00000000BF88: 85153C24
	s_mov_b64 exec, s[20:21]                                   // 00000000BF8C: BEFE0114
	global_atomic_add_f32 v6, v87, s[8:9] offset:8             // 00000000BF90: DD348008 00085706
	global_atomic_add_f32 v6, v91, s[8:9] offset:264           // 00000000BF98: DD348108 00085B06
	global_atomic_add_f32 v6, v95, s[8:9] offset:520           // 00000000BFA0: DD348208 00085F06
	global_atomic_add_f32 v6, v99, s[8:9] offset:776           // 00000000BFA8: DD348308 00086306
	s_mov_b64 exec, s[36:37]                                   // 00000000BFB0: BEFE0124
	ds_write_b64 v20, v[100:101]                               // 00000000BFB4: D89A0000 00006414
	ds_write_b64 v20, v[104:105] offset:8704                   // 00000000BFBC: D89A2200 00006814
	ds_write_b64 v20, v[108:109] offset:17408                  // 00000000BFC4: D89A4400 00006C14
	ds_write_b64 v20, v[112:113] offset:2176                   // 00000000BFCC: D89A0880 00007014
	ds_write_b64 v20, v[116:117] offset:10880                  // 00000000BFD4: D89A2A80 00007414
	ds_write_b64 v20, v[120:121] offset:19584                  // 00000000BFDC: D89A4C80 00007814
	ds_write_b64 v20, v[124:125] offset:4352                   // 00000000BFE4: D89A1100 00007C14
	ds_write_b64 v20, v[128:129] offset:13056                  // 00000000BFEC: D89A3300 00008014
	ds_write_b64 v20, v[132:133] offset:21760                  // 00000000BFF4: D89A5500 00008414
	ds_write_b64 v20, v[136:137] offset:6528                   // 00000000BFFC: D89A1980 00008814
	ds_write_b64 v20, v[140:141] offset:15232                  // 00000000C004: D89A3B80 00008C14
	ds_write_b64 v20, v[144:145] offset:23936                  // 00000000C00C: D89A5D80 00009014
	s_waitcnt lgkmcnt(0)                                       // 00000000C014: BF8CC07F
	s_barrier                                                  // 00000000C018: BF8A0000
	ds_read_b32 v100, v21                                      // 00000000C01C: D86C0000 64000015
	ds_read_b32 v101, v21 offset:64                            // 00000000C024: D86C0040 65000015
	ds_read_b32 v104, v21 offset:2176                          // 00000000C02C: D86C0880 68000015
	ds_read_b32 v105, v21 offset:2240                          // 00000000C034: D86C08C0 69000015
	ds_read_b32 v108, v21 offset:4352                          // 00000000C03C: D86C1100 6C000015
	ds_read_b32 v109, v21 offset:4416                          // 00000000C044: D86C1140 6D000015
	ds_read_b32 v112, v21 offset:6528                          // 00000000C04C: D86C1980 70000015
	ds_read_b32 v113, v21 offset:6592                          // 00000000C054: D86C19C0 71000015
	ds_read_b32 v116, v21 offset:8704                          // 00000000C05C: D86C2200 74000015
	ds_read_b32 v117, v21 offset:8768                          // 00000000C064: D86C2240 75000015
	ds_read_b32 v120, v21 offset:10880                         // 00000000C06C: D86C2A80 78000015
	ds_read_b32 v121, v21 offset:10944                         // 00000000C074: D86C2AC0 79000015
	ds_read_b32 v124, v21 offset:13056                         // 00000000C07C: D86C3300 7C000015
	ds_read_b32 v125, v21 offset:13120                         // 00000000C084: D86C3340 7D000015
	ds_read_b32 v128, v21 offset:15232                         // 00000000C08C: D86C3B80 80000015
	ds_read_b32 v129, v21 offset:15296                         // 00000000C094: D86C3BC0 81000015
	ds_read_b32 v132, v21 offset:17408                         // 00000000C09C: D86C4400 84000015
	ds_read_b32 v133, v21 offset:17472                         // 00000000C0A4: D86C4440 85000015
	ds_read_b32 v136, v21 offset:19584                         // 00000000C0AC: D86C4C80 88000015
	ds_read_b32 v137, v21 offset:19648                         // 00000000C0B4: D86C4CC0 89000015
	ds_read_b32 v140, v21 offset:21760                         // 00000000C0BC: D86C5500 8C000015
	ds_read_b32 v141, v21 offset:21824                         // 00000000C0C4: D86C5540 8D000015
	ds_read_b32 v144, v21 offset:23936                         // 00000000C0CC: D86C5D80 90000015
	ds_read_b32 v145, v21 offset:24000                         // 00000000C0D4: D86C5DC0 91000015
	s_mul_i32 s60, s65, 4                                      // 00000000C0DC: 923C8441
	s_add_u32 s8, s60, s8                                      // 00000000C0E0: 8008083C
	s_addc_u32 s9, 0, s9                                       // 00000000C0E4: 82090980
	s_waitcnt lgkmcnt(0)                                       // 00000000C0E8: BF8CC07F
	v_mov_b32_e32 v7, 0                                        // 00000000C0EC: 7E0E0280
	s_mov_b64 exec, s[36:37]                                   // 00000000C0F0: BEFE0124
	v_mov_b32_e32 v6, v42                                      // 00000000C0F4: 7E0C032A
	s_mov_b64 s[60:61], 0                                      // 00000000C0F8: BEBC0180
	v_readlane_b32 s82, v3, 0                                  // 00000000C0FC: D2890052 00010103
	s_and_b32 s82, s82, 0xffffff                               // 00000000C104: 8652FF52 00FFFFFF
	s_cmp_lt_u32 s82, s66                                      // 00000000C10C: BF0A4252
	s_cselect_b32 s20, s36, s60                                // 00000000C110: 85143C24
	v_readlane_b32 s82, v3, 1                                  // 00000000C114: D2890052 00010303
	s_and_b32 s82, s82, 0xffffff                               // 00000000C11C: 8652FF52 00FFFFFF
	s_cmp_lt_u32 s82, s66                                      // 00000000C124: BF0A4252
	s_cselect_b32 s21, s36, s60                                // 00000000C128: 85153C24
	s_mov_b64 exec, s[20:21]                                   // 00000000C12C: BEFE0114
	global_atomic_add_f32 v6, v100, s[8:9]                     // 00000000C130: DD348000 00086406
	global_atomic_add_f32 v6, v104, s[8:9] offset:256          // 00000000C138: DD348100 00086806
	global_atomic_add_f32 v6, v108, s[8:9] offset:512          // 00000000C140: DD348200 00086C06
	global_atomic_add_f32 v6, v112, s[8:9] offset:768          // 00000000C148: DD348300 00087006
	s_mov_b64 exec, s[36:37]                                   // 00000000C150: BEFE0124
	v_mov_b32_e32 v6, v43                                      // 00000000C154: 7E0C032B
	s_mov_b64 s[60:61], 0                                      // 00000000C158: BEBC0180
	v_readlane_b32 s82, v3, 2                                  // 00000000C15C: D2890052 00010503
	s_and_b32 s82, s82, 0xffffff                               // 00000000C164: 8652FF52 00FFFFFF
	s_cmp_lt_u32 s82, s66                                      // 00000000C16C: BF0A4252
	s_cselect_b32 s20, s36, s60                                // 00000000C170: 85143C24
	v_readlane_b32 s82, v3, 3                                  // 00000000C174: D2890052 00010703
	s_and_b32 s82, s82, 0xffffff                               // 00000000C17C: 8652FF52 00FFFFFF
	s_cmp_lt_u32 s82, s66                                      // 00000000C184: BF0A4252
	s_cselect_b32 s21, s36, s60                                // 00000000C188: 85153C24
	s_mov_b64 exec, s[20:21]                                   // 00000000C18C: BEFE0114
	global_atomic_add_f32 v6, v101, s[8:9]                     // 00000000C190: DD348000 00086506
	global_atomic_add_f32 v6, v105, s[8:9] offset:256          // 00000000C198: DD348100 00086906
	global_atomic_add_f32 v6, v109, s[8:9] offset:512          // 00000000C1A0: DD348200 00086D06
	global_atomic_add_f32 v6, v113, s[8:9] offset:768          // 00000000C1A8: DD348300 00087106
	s_mov_b64 exec, s[36:37]                                   // 00000000C1B0: BEFE0124
	v_mov_b32_e32 v6, v44                                      // 00000000C1B4: 7E0C032C
	s_mov_b64 s[60:61], 0                                      // 00000000C1B8: BEBC0180
	v_readlane_b32 s82, v3, 4                                  // 00000000C1BC: D2890052 00010903
	s_and_b32 s82, s82, 0xffffff                               // 00000000C1C4: 8652FF52 00FFFFFF
	s_cmp_lt_u32 s82, s66                                      // 00000000C1CC: BF0A4252
	s_cselect_b32 s20, s36, s60                                // 00000000C1D0: 85143C24
	v_readlane_b32 s82, v3, 5                                  // 00000000C1D4: D2890052 00010B03
	s_and_b32 s82, s82, 0xffffff                               // 00000000C1DC: 8652FF52 00FFFFFF
	s_cmp_lt_u32 s82, s66                                      // 00000000C1E4: BF0A4252
	s_cselect_b32 s21, s36, s60                                // 00000000C1E8: 85153C24
	s_mov_b64 exec, s[20:21]                                   // 00000000C1EC: BEFE0114
	global_atomic_add_f32 v6, v116, s[8:9]                     // 00000000C1F0: DD348000 00087406
	global_atomic_add_f32 v6, v120, s[8:9] offset:256          // 00000000C1F8: DD348100 00087806
	global_atomic_add_f32 v6, v124, s[8:9] offset:512          // 00000000C200: DD348200 00087C06
	global_atomic_add_f32 v6, v128, s[8:9] offset:768          // 00000000C208: DD348300 00088006
	s_mov_b64 exec, s[36:37]                                   // 00000000C210: BEFE0124
	v_mov_b32_e32 v6, v45                                      // 00000000C214: 7E0C032D
	s_mov_b64 s[60:61], 0                                      // 00000000C218: BEBC0180
	v_readlane_b32 s82, v3, 6                                  // 00000000C21C: D2890052 00010D03
	s_and_b32 s82, s82, 0xffffff                               // 00000000C224: 8652FF52 00FFFFFF
	s_cmp_lt_u32 s82, s66                                      // 00000000C22C: BF0A4252
	s_cselect_b32 s20, s36, s60                                // 00000000C230: 85143C24
	v_readlane_b32 s82, v3, 7                                  // 00000000C234: D2890052 00010F03
	s_and_b32 s82, s82, 0xffffff                               // 00000000C23C: 8652FF52 00FFFFFF
	s_cmp_lt_u32 s82, s66                                      // 00000000C244: BF0A4252
	s_cselect_b32 s21, s36, s60                                // 00000000C248: 85153C24
	s_mov_b64 exec, s[20:21]                                   // 00000000C24C: BEFE0114
	global_atomic_add_f32 v6, v117, s[8:9]                     // 00000000C250: DD348000 00087506
	global_atomic_add_f32 v6, v121, s[8:9] offset:256          // 00000000C258: DD348100 00087906
	global_atomic_add_f32 v6, v125, s[8:9] offset:512          // 00000000C260: DD348200 00087D06
	global_atomic_add_f32 v6, v129, s[8:9] offset:768          // 00000000C268: DD348300 00088106
	s_mov_b64 exec, s[36:37]                                   // 00000000C270: BEFE0124
	v_mov_b32_e32 v6, v46                                      // 00000000C274: 7E0C032E
	s_mov_b64 s[60:61], 0                                      // 00000000C278: BEBC0180
	v_readlane_b32 s82, v3, 8                                  // 00000000C27C: D2890052 00011103
	s_and_b32 s82, s82, 0xffffff                               // 00000000C284: 8652FF52 00FFFFFF
	s_cmp_lt_u32 s82, s66                                      // 00000000C28C: BF0A4252
	s_cselect_b32 s20, s36, s60                                // 00000000C290: 85143C24
	v_readlane_b32 s82, v3, 9                                  // 00000000C294: D2890052 00011303
	s_and_b32 s82, s82, 0xffffff                               // 00000000C29C: 8652FF52 00FFFFFF
	s_cmp_lt_u32 s82, s66                                      // 00000000C2A4: BF0A4252
	s_cselect_b32 s21, s36, s60                                // 00000000C2A8: 85153C24
	s_mov_b64 exec, s[20:21]                                   // 00000000C2AC: BEFE0114
	global_atomic_add_f32 v6, v132, s[8:9]                     // 00000000C2B0: DD348000 00088406
	global_atomic_add_f32 v6, v136, s[8:9] offset:256          // 00000000C2B8: DD348100 00088806
	global_atomic_add_f32 v6, v140, s[8:9] offset:512          // 00000000C2C0: DD348200 00088C06
	global_atomic_add_f32 v6, v144, s[8:9] offset:768          // 00000000C2C8: DD348300 00089006
	s_mov_b64 exec, s[36:37]                                   // 00000000C2D0: BEFE0124
	v_mov_b32_e32 v6, v47                                      // 00000000C2D4: 7E0C032F
	s_mov_b64 s[60:61], 0                                      // 00000000C2D8: BEBC0180
	v_readlane_b32 s82, v3, 10                                 // 00000000C2DC: D2890052 00011503
	s_and_b32 s82, s82, 0xffffff                               // 00000000C2E4: 8652FF52 00FFFFFF
	s_cmp_lt_u32 s82, s66                                      // 00000000C2EC: BF0A4252
	s_cselect_b32 s20, s36, s60                                // 00000000C2F0: 85143C24
	v_readlane_b32 s82, v3, 11                                 // 00000000C2F4: D2890052 00011703
	s_and_b32 s82, s82, 0xffffff                               // 00000000C2FC: 8652FF52 00FFFFFF
	s_cmp_lt_u32 s82, s66                                      // 00000000C304: BF0A4252
	s_cselect_b32 s21, s36, s60                                // 00000000C308: 85153C24
	s_mov_b64 exec, s[20:21]                                   // 00000000C30C: BEFE0114
	global_atomic_add_f32 v6, v133, s[8:9]                     // 00000000C310: DD348000 00088506
	global_atomic_add_f32 v6, v137, s[8:9] offset:256          // 00000000C318: DD348100 00088906
	global_atomic_add_f32 v6, v141, s[8:9] offset:512          // 00000000C320: DD348200 00088D06
	global_atomic_add_f32 v6, v145, s[8:9] offset:768          // 00000000C328: DD348300 00089106
	s_mov_b64 exec, s[36:37]                                   // 00000000C330: BEFE0124
	ds_write_b64 v20, v[102:103]                               // 00000000C334: D89A0000 00006614
	ds_write_b64 v20, v[106:107] offset:8704                   // 00000000C33C: D89A2200 00006A14
	ds_write_b64 v20, v[110:111] offset:17408                  // 00000000C344: D89A4400 00006E14
	ds_write_b64 v20, v[114:115] offset:2176                   // 00000000C34C: D89A0880 00007214
	ds_write_b64 v20, v[118:119] offset:10880                  // 00000000C354: D89A2A80 00007614
	ds_write_b64 v20, v[122:123] offset:19584                  // 00000000C35C: D89A4C80 00007A14
	ds_write_b64 v20, v[126:127] offset:4352                   // 00000000C364: D89A1100 00007E14
	ds_write_b64 v20, v[130:131] offset:13056                  // 00000000C36C: D89A3300 00008214
	ds_write_b64 v20, v[134:135] offset:21760                  // 00000000C374: D89A5500 00008614
	ds_write_b64 v20, v[138:139] offset:6528                   // 00000000C37C: D89A1980 00008A14
	ds_write_b64 v20, v[142:143] offset:15232                  // 00000000C384: D89A3B80 00008E14
	ds_write_b64 v20, v[146:147] offset:23936                  // 00000000C38C: D89A5D80 00009214
	s_waitcnt lgkmcnt(0)                                       // 00000000C394: BF8CC07F
	s_barrier                                                  // 00000000C398: BF8A0000
	ds_read_b32 v102, v21                                      // 00000000C39C: D86C0000 66000015
	ds_read_b32 v103, v21 offset:64                            // 00000000C3A4: D86C0040 67000015
	ds_read_b32 v106, v21 offset:2176                          // 00000000C3AC: D86C0880 6A000015
	ds_read_b32 v107, v21 offset:2240                          // 00000000C3B4: D86C08C0 6B000015
	ds_read_b32 v110, v21 offset:4352                          // 00000000C3BC: D86C1100 6E000015
	ds_read_b32 v111, v21 offset:4416                          // 00000000C3C4: D86C1140 6F000015
	ds_read_b32 v114, v21 offset:6528                          // 00000000C3CC: D86C1980 72000015
	ds_read_b32 v115, v21 offset:6592                          // 00000000C3D4: D86C19C0 73000015
	ds_read_b32 v118, v21 offset:8704                          // 00000000C3DC: D86C2200 76000015
	ds_read_b32 v119, v21 offset:8768                          // 00000000C3E4: D86C2240 77000015
	ds_read_b32 v122, v21 offset:10880                         // 00000000C3EC: D86C2A80 7A000015
	ds_read_b32 v123, v21 offset:10944                         // 00000000C3F4: D86C2AC0 7B000015
	ds_read_b32 v126, v21 offset:13056                         // 00000000C3FC: D86C3300 7E000015
	ds_read_b32 v127, v21 offset:13120                         // 00000000C404: D86C3340 7F000015
	ds_read_b32 v130, v21 offset:15232                         // 00000000C40C: D86C3B80 82000015
	ds_read_b32 v131, v21 offset:15296                         // 00000000C414: D86C3BC0 83000015
	ds_read_b32 v134, v21 offset:17408                         // 00000000C41C: D86C4400 86000015
	ds_read_b32 v135, v21 offset:17472                         // 00000000C424: D86C4440 87000015
	ds_read_b32 v138, v21 offset:19584                         // 00000000C42C: D86C4C80 8A000015
	ds_read_b32 v139, v21 offset:19648                         // 00000000C434: D86C4CC0 8B000015
	ds_read_b32 v142, v21 offset:21760                         // 00000000C43C: D86C5500 8E000015
	ds_read_b32 v143, v21 offset:21824                         // 00000000C444: D86C5540 8F000015
	ds_read_b32 v146, v21 offset:23936                         // 00000000C44C: D86C5D80 92000015
	ds_read_b32 v147, v21 offset:24000                         // 00000000C454: D86C5DC0 93000015
	s_waitcnt lgkmcnt(0)                                       // 00000000C45C: BF8CC07F
	v_mov_b32_e32 v7, 0                                        // 00000000C460: 7E0E0280
	s_mov_b64 exec, s[36:37]                                   // 00000000C464: BEFE0124
	v_mov_b32_e32 v6, v42                                      // 00000000C468: 7E0C032A
	s_mov_b64 s[60:61], 0                                      // 00000000C46C: BEBC0180
	v_readlane_b32 s82, v3, 0                                  // 00000000C470: D2890052 00010103
	s_and_b32 s82, s82, 0xffffff                               // 00000000C478: 8652FF52 00FFFFFF
	s_cmp_lt_u32 s82, s66                                      // 00000000C480: BF0A4252
	s_cselect_b32 s20, s36, s60                                // 00000000C484: 85143C24
	v_readlane_b32 s82, v3, 1                                  // 00000000C488: D2890052 00010303
	s_and_b32 s82, s82, 0xffffff                               // 00000000C490: 8652FF52 00FFFFFF
	s_cmp_lt_u32 s82, s66                                      // 00000000C498: BF0A4252
	s_cselect_b32 s21, s36, s60                                // 00000000C49C: 85153C24
	s_mov_b64 exec, s[20:21]                                   // 00000000C4A0: BEFE0114
	global_atomic_add_f32 v6, v102, s[8:9] offset:8            // 00000000C4A4: DD348008 00086606
	global_atomic_add_f32 v6, v106, s[8:9] offset:264          // 00000000C4AC: DD348108 00086A06
	global_atomic_add_f32 v6, v110, s[8:9] offset:520          // 00000000C4B4: DD348208 00086E06
	global_atomic_add_f32 v6, v114, s[8:9] offset:776          // 00000000C4BC: DD348308 00087206
	s_mov_b64 exec, s[36:37]                                   // 00000000C4C4: BEFE0124
	v_mov_b32_e32 v6, v43                                      // 00000000C4C8: 7E0C032B
	s_mov_b64 s[60:61], 0                                      // 00000000C4CC: BEBC0180
	v_readlane_b32 s82, v3, 2                                  // 00000000C4D0: D2890052 00010503
	s_and_b32 s82, s82, 0xffffff                               // 00000000C4D8: 8652FF52 00FFFFFF
	s_cmp_lt_u32 s82, s66                                      // 00000000C4E0: BF0A4252
	s_cselect_b32 s20, s36, s60                                // 00000000C4E4: 85143C24
	v_readlane_b32 s82, v3, 3                                  // 00000000C4E8: D2890052 00010703
	s_and_b32 s82, s82, 0xffffff                               // 00000000C4F0: 8652FF52 00FFFFFF
	s_cmp_lt_u32 s82, s66                                      // 00000000C4F8: BF0A4252
	s_cselect_b32 s21, s36, s60                                // 00000000C4FC: 85153C24
	s_mov_b64 exec, s[20:21]                                   // 00000000C500: BEFE0114
	global_atomic_add_f32 v6, v103, s[8:9] offset:8            // 00000000C504: DD348008 00086706
	global_atomic_add_f32 v6, v107, s[8:9] offset:264          // 00000000C50C: DD348108 00086B06
	global_atomic_add_f32 v6, v111, s[8:9] offset:520          // 00000000C514: DD348208 00086F06
	global_atomic_add_f32 v6, v115, s[8:9] offset:776          // 00000000C51C: DD348308 00087306
	s_mov_b64 exec, s[36:37]                                   // 00000000C524: BEFE0124
	v_mov_b32_e32 v6, v44                                      // 00000000C528: 7E0C032C
	s_mov_b64 s[60:61], 0                                      // 00000000C52C: BEBC0180
	v_readlane_b32 s82, v3, 4                                  // 00000000C530: D2890052 00010903
	s_and_b32 s82, s82, 0xffffff                               // 00000000C538: 8652FF52 00FFFFFF
	s_cmp_lt_u32 s82, s66                                      // 00000000C540: BF0A4252
	s_cselect_b32 s20, s36, s60                                // 00000000C544: 85143C24
	v_readlane_b32 s82, v3, 5                                  // 00000000C548: D2890052 00010B03
	s_and_b32 s82, s82, 0xffffff                               // 00000000C550: 8652FF52 00FFFFFF
	s_cmp_lt_u32 s82, s66                                      // 00000000C558: BF0A4252
	s_cselect_b32 s21, s36, s60                                // 00000000C55C: 85153C24
	s_mov_b64 exec, s[20:21]                                   // 00000000C560: BEFE0114
	global_atomic_add_f32 v6, v118, s[8:9] offset:8            // 00000000C564: DD348008 00087606
	global_atomic_add_f32 v6, v122, s[8:9] offset:264          // 00000000C56C: DD348108 00087A06
	global_atomic_add_f32 v6, v126, s[8:9] offset:520          // 00000000C574: DD348208 00087E06
	global_atomic_add_f32 v6, v130, s[8:9] offset:776          // 00000000C57C: DD348308 00088206
	s_mov_b64 exec, s[36:37]                                   // 00000000C584: BEFE0124
	v_mov_b32_e32 v6, v45                                      // 00000000C588: 7E0C032D
	s_mov_b64 s[60:61], 0                                      // 00000000C58C: BEBC0180
	v_readlane_b32 s82, v3, 6                                  // 00000000C590: D2890052 00010D03
	s_and_b32 s82, s82, 0xffffff                               // 00000000C598: 8652FF52 00FFFFFF
	s_cmp_lt_u32 s82, s66                                      // 00000000C5A0: BF0A4252
	s_cselect_b32 s20, s36, s60                                // 00000000C5A4: 85143C24
	v_readlane_b32 s82, v3, 7                                  // 00000000C5A8: D2890052 00010F03
	s_and_b32 s82, s82, 0xffffff                               // 00000000C5B0: 8652FF52 00FFFFFF
	s_cmp_lt_u32 s82, s66                                      // 00000000C5B8: BF0A4252
	s_cselect_b32 s21, s36, s60                                // 00000000C5BC: 85153C24
	s_mov_b64 exec, s[20:21]                                   // 00000000C5C0: BEFE0114
	global_atomic_add_f32 v6, v119, s[8:9] offset:8            // 00000000C5C4: DD348008 00087706
	global_atomic_add_f32 v6, v123, s[8:9] offset:264          // 00000000C5CC: DD348108 00087B06
	global_atomic_add_f32 v6, v127, s[8:9] offset:520          // 00000000C5D4: DD348208 00087F06
	global_atomic_add_f32 v6, v131, s[8:9] offset:776          // 00000000C5DC: DD348308 00088306
	s_mov_b64 exec, s[36:37]                                   // 00000000C5E4: BEFE0124
	v_mov_b32_e32 v6, v46                                      // 00000000C5E8: 7E0C032E
	s_mov_b64 s[60:61], 0                                      // 00000000C5EC: BEBC0180
	v_readlane_b32 s82, v3, 8                                  // 00000000C5F0: D2890052 00011103
	s_and_b32 s82, s82, 0xffffff                               // 00000000C5F8: 8652FF52 00FFFFFF
	s_cmp_lt_u32 s82, s66                                      // 00000000C600: BF0A4252
	s_cselect_b32 s20, s36, s60                                // 00000000C604: 85143C24
	v_readlane_b32 s82, v3, 9                                  // 00000000C608: D2890052 00011303
	s_and_b32 s82, s82, 0xffffff                               // 00000000C610: 8652FF52 00FFFFFF
	s_cmp_lt_u32 s82, s66                                      // 00000000C618: BF0A4252
	s_cselect_b32 s21, s36, s60                                // 00000000C61C: 85153C24
	s_mov_b64 exec, s[20:21]                                   // 00000000C620: BEFE0114
	global_atomic_add_f32 v6, v134, s[8:9] offset:8            // 00000000C624: DD348008 00088606
	global_atomic_add_f32 v6, v138, s[8:9] offset:264          // 00000000C62C: DD348108 00088A06
	global_atomic_add_f32 v6, v142, s[8:9] offset:520          // 00000000C634: DD348208 00088E06
	global_atomic_add_f32 v6, v146, s[8:9] offset:776          // 00000000C63C: DD348308 00089206
	s_mov_b64 exec, s[36:37]                                   // 00000000C644: BEFE0124
	v_mov_b32_e32 v6, v47                                      // 00000000C648: 7E0C032F
	s_mov_b64 s[60:61], 0                                      // 00000000C64C: BEBC0180
	v_readlane_b32 s82, v3, 10                                 // 00000000C650: D2890052 00011503
	s_and_b32 s82, s82, 0xffffff                               // 00000000C658: 8652FF52 00FFFFFF
	s_cmp_lt_u32 s82, s66                                      // 00000000C660: BF0A4252
	s_cselect_b32 s20, s36, s60                                // 00000000C664: 85143C24
	v_readlane_b32 s82, v3, 11                                 // 00000000C668: D2890052 00011703
	s_and_b32 s82, s82, 0xffffff                               // 00000000C670: 8652FF52 00FFFFFF
	s_cmp_lt_u32 s82, s66                                      // 00000000C678: BF0A4252
	s_cselect_b32 s21, s36, s60                                // 00000000C67C: 85153C24
	s_mov_b64 exec, s[20:21]                                   // 00000000C680: BEFE0114
	global_atomic_add_f32 v6, v135, s[8:9] offset:8            // 00000000C684: DD348008 00088706
	global_atomic_add_f32 v6, v139, s[8:9] offset:264          // 00000000C68C: DD348108 00088B06
	global_atomic_add_f32 v6, v143, s[8:9] offset:520          // 00000000C694: DD348208 00088F06
	global_atomic_add_f32 v6, v147, s[8:9] offset:776          // 00000000C69C: DD348308 00089306
	s_mov_b64 exec, s[36:37]                                   // 00000000C6A4: BEFE0124
	s_branch label_272E                                        // 00000000C6A8: BF820000

000000000000c6ac <label_272E>:
	s_waitcnt vmcnt(0) expcnt(0) lgkmcnt(0)                    // 00000000C6AC: BF8C0000
	s_endpgm                                                   // 00000000C6B0: BF810000
